;; amdgpu-corpus repo=ROCm/rocFFT kind=compiled arch=gfx1201 opt=O3
	.text
	.amdgcn_target "amdgcn-amd-amdhsa--gfx1201"
	.amdhsa_code_object_version 6
	.protected	bluestein_single_fwd_len686_dim1_dp_op_CI_CI ; -- Begin function bluestein_single_fwd_len686_dim1_dp_op_CI_CI
	.globl	bluestein_single_fwd_len686_dim1_dp_op_CI_CI
	.p2align	8
	.type	bluestein_single_fwd_len686_dim1_dp_op_CI_CI,@function
bluestein_single_fwd_len686_dim1_dp_op_CI_CI: ; @bluestein_single_fwd_len686_dim1_dp_op_CI_CI
; %bb.0:
	s_load_b128 s[16:19], s[0:1], 0x28
	v_mul_u32_u24_e32 v1, 0x53a, v0
	s_mov_b32 s2, exec_lo
	v_mov_b32_e32 v157, 0
	s_delay_alu instid0(VALU_DEP_2) | instskip(NEXT) | instid1(VALU_DEP_1)
	v_lshrrev_b32_e32 v1, 16, v1
	v_add_nc_u32_e32 v156, ttmp9, v1
	s_wait_kmcnt 0x0
	s_delay_alu instid0(VALU_DEP_1)
	v_cmpx_gt_u64_e64 s[16:17], v[156:157]
	s_cbranch_execz .LBB0_2
; %bb.1:
	s_clause 0x1
	s_load_b128 s[4:7], s[0:1], 0x18
	s_load_b128 s[8:11], s[0:1], 0x0
	v_mul_lo_u16 v1, v1, 49
	s_mov_b32 s22, 0x37e14327
	s_mov_b32 s23, 0x3fe948f6
	;; [unrolled: 1-line block ×4, first 2 shown]
	v_sub_nc_u16 v60, v0, v1
	s_mov_b32 s16, 0x5476071b
	s_mov_b32 s24, 0xb247c609
	;; [unrolled: 1-line block ×4, first 2 shown]
	v_and_b32_e32 v158, 0xffff, v60
	s_mov_b32 s27, 0xbfd5d0dc
	s_mov_b32 s26, s24
	;; [unrolled: 1-line block ×5, first 2 shown]
	s_load_b64 s[0:1], s[0:1], 0x38
	s_wait_kmcnt 0x0
	s_load_b128 s[12:15], s[4:5], 0x0
	s_wait_kmcnt 0x0
	v_mad_co_u64_u32 v[12:13], null, s12, v158, 0
	v_mad_co_u64_u32 v[0:1], null, s14, v156, 0
	s_mul_i32 s4, s13, 0xffffde50
	s_mul_u64 s[2:3], s[12:13], 0x620
	s_sub_co_i32 s4, s4, s12
	s_delay_alu instid0(VALU_DEP_2) | instskip(NEXT) | instid1(VALU_DEP_1)
	v_mov_b32_e32 v2, v13
	v_mad_co_u64_u32 v[3:4], null, s15, v156, v[1:2]
	s_mov_b32 s14, 0xaaaaaaaa
	s_mov_b32 s15, 0xbff2aaaa
	s_delay_alu instid0(VALU_DEP_1) | instskip(SKIP_2) | instid1(VALU_DEP_3)
	v_mov_b32_e32 v1, v3
	v_lshlrev_b32_e32 v157, 4, v158
	v_mad_co_u64_u32 v[4:5], null, s13, v158, v[2:3]
	v_lshlrev_b64_e32 v[14:15], 4, v[0:1]
	s_delay_alu instid0(VALU_DEP_2) | instskip(NEXT) | instid1(VALU_DEP_2)
	v_mov_b32_e32 v13, v4
	v_add_co_u32 v18, vcc_lo, s18, v14
	s_delay_alu instid0(VALU_DEP_3) | instskip(NEXT) | instid1(VALU_DEP_3)
	v_add_co_ci_u32_e32 v19, vcc_lo, s19, v15, vcc_lo
	v_lshlrev_b64_e32 v[16:17], 4, v[12:13]
	s_clause 0x7
	global_load_b128 v[0:3], v157, s[8:9] offset:7840
	global_load_b128 v[4:7], v157, s[8:9] offset:9408
	global_load_b128 v[8:11], v157, s[8:9]
	global_load_b128 v[12:15], v157, s[8:9] offset:784
	global_load_b128 v[20:23], v157, s[8:9] offset:2352
	;; [unrolled: 1-line block ×5, first 2 shown]
	v_add_co_u32 v48, vcc_lo, v18, v16
	s_wait_alu 0xfffd
	v_add_co_ci_u32_e32 v49, vcc_lo, v19, v17, vcc_lo
	global_load_b128 v[16:19], v157, s[8:9] offset:1568
	v_add_co_u32 v50, vcc_lo, v48, s2
	s_wait_alu 0xfffd
	v_add_co_ci_u32_e32 v51, vcc_lo, s3, v49, vcc_lo
	s_clause 0x1
	global_load_b128 v[36:39], v157, s[8:9] offset:5488
	global_load_b128 v[40:43], v157, s[8:9] offset:6272
	v_add_co_u32 v52, vcc_lo, v50, s2
	s_wait_alu 0xfffd
	v_add_co_ci_u32_e32 v53, vcc_lo, s3, v51, vcc_lo
	global_load_b128 v[44:47], v157, s[8:9] offset:7056
	v_add_co_u32 v54, vcc_lo, v52, s2
	s_wait_alu 0xfffd
	v_add_co_ci_u32_e32 v55, vcc_lo, s3, v53, vcc_lo
	s_mov_b32 s19, 0xbfe77f67
	s_delay_alu instid0(VALU_DEP_2) | instskip(SKIP_1) | instid1(VALU_DEP_2)
	v_add_co_u32 v73, vcc_lo, v54, s2
	s_wait_alu 0xfffd
	v_add_co_ci_u32_e32 v74, vcc_lo, s3, v55, vcc_lo
	s_mov_b32 s18, s16
	s_delay_alu instid0(VALU_DEP_2) | instskip(SKIP_1) | instid1(VALU_DEP_2)
	v_add_co_u32 v77, vcc_lo, v73, s2
	s_wait_alu 0xfffd
	v_add_co_ci_u32_e32 v78, vcc_lo, s3, v74, vcc_lo
	s_clause 0x4
	global_load_b128 v[56:59], v[48:49], off
	global_load_b128 v[61:64], v[50:51], off
	;; [unrolled: 1-line block ×5, first 2 shown]
	v_add_co_u32 v81, vcc_lo, v77, s2
	s_wait_alu 0xfffd
	v_add_co_ci_u32_e32 v82, vcc_lo, s3, v78, vcc_lo
	global_load_b128 v[77:80], v[77:78], off
	v_mad_co_u64_u32 v[85:86], null, 0xffffde50, s12, v[81:82]
	global_load_b128 v[81:84], v[81:82], off
	s_mov_b32 s12, 0x429ad128
	s_mov_b32 s13, 0xbfebfeb5
	s_wait_alu 0xfffe
	s_mov_b32 s28, s12
	v_add_nc_u32_e32 v86, s4, v86
	v_add_co_u32 v48, vcc_lo, v85, s2
	s_wait_alu 0xfffd
	s_delay_alu instid0(VALU_DEP_2) | instskip(NEXT) | instid1(VALU_DEP_2)
	v_add_co_ci_u32_e32 v49, vcc_lo, s3, v86, vcc_lo
	v_add_co_u32 v50, vcc_lo, v48, s2
	global_load_b128 v[85:88], v[85:86], off
	s_wait_alu 0xfffd
	v_add_co_ci_u32_e32 v51, vcc_lo, s3, v49, vcc_lo
	v_add_co_u32 v52, vcc_lo, v50, s2
	global_load_b128 v[89:92], v[48:49], off
	s_wait_alu 0xfffd
	;; [unrolled: 4-line block ×4, first 2 shown]
	v_add_co_ci_u32_e32 v55, vcc_lo, s3, v49, vcc_lo
	v_add_co_u32 v109, vcc_lo, v54, s2
	s_wait_alu 0xfffd
	s_delay_alu instid0(VALU_DEP_2)
	v_add_co_ci_u32_e32 v110, vcc_lo, s3, v55, vcc_lo
	global_load_b128 v[101:104], v[48:49], off
	global_load_b128 v[48:51], v157, s[8:9] offset:8624
	global_load_b128 v[105:108], v[54:55], off
	global_load_b128 v[52:55], v157, s[8:9] offset:10192
	global_load_b128 v[109:112], v[109:110], off
	s_load_b128 s[4:7], s[6:7], 0x0
	s_mov_b32 s2, 0x36b3c0b5
	s_mov_b32 s3, 0x3fac98ee
	s_wait_loadcnt 0xf
	v_mul_f64_e32 v[113:114], v[58:59], v[10:11]
	v_mul_f64_e32 v[115:116], v[56:57], v[10:11]
	s_wait_loadcnt 0xe
	v_mul_f64_e32 v[117:118], v[63:64], v[18:19]
	v_mul_f64_e32 v[119:120], v[61:62], v[18:19]
	;; [unrolled: 3-line block ×9, first 2 shown]
	v_fma_f64 v[56:57], v[56:57], v[8:9], v[113:114]
	s_wait_loadcnt 0x6
	v_mul_f64_e32 v[149:150], v[95:96], v[30:31]
	v_mul_f64_e32 v[151:152], v[93:94], v[30:31]
	v_fma_f64 v[58:59], v[58:59], v[8:9], -v[115:116]
	v_fma_f64 v[61:62], v[61:62], v[16:17], v[117:118]
	v_fma_f64 v[63:64], v[63:64], v[16:17], -v[119:120]
	s_wait_loadcnt 0x5
	v_mul_f64_e32 v[153:154], v[99:100], v[38:39]
	v_mul_f64_e32 v[159:160], v[97:98], v[38:39]
	v_fma_f64 v[65:66], v[65:66], v[24:25], v[121:122]
	v_fma_f64 v[67:68], v[67:68], v[24:25], -v[123:124]
	s_wait_loadcnt 0x4
	v_mul_f64_e32 v[161:162], v[103:104], v[46:47]
	v_mul_f64_e32 v[163:164], v[101:102], v[46:47]
	s_wait_loadcnt 0x2
	v_mul_f64_e32 v[165:166], v[107:108], v[50:51]
	v_mul_f64_e32 v[167:168], v[105:106], v[50:51]
	;; [unrolled: 3-line block ×3, first 2 shown]
	v_fma_f64 v[69:70], v[69:70], v[32:33], v[125:126]
	v_fma_f64 v[71:72], v[71:72], v[32:33], -v[127:128]
	v_fma_f64 v[73:74], v[73:74], v[40:41], v[129:130]
	v_fma_f64 v[75:76], v[75:76], v[40:41], -v[131:132]
	;; [unrolled: 2-line block ×8, first 2 shown]
	v_and_b32_e32 v153, 0xff, v60
	v_add_co_u32 v154, null, v158, 49
	v_fma_f64 v[101:102], v[101:102], v[44:45], v[161:162]
	v_fma_f64 v[103:104], v[103:104], v[44:45], -v[163:164]
	v_fma_f64 v[105:106], v[105:106], v[48:49], v[165:166]
	v_fma_f64 v[107:108], v[107:108], v[48:49], -v[167:168]
	;; [unrolled: 2-line block ×3, first 2 shown]
	v_mul_lo_u16 v153, v153, 37
	ds_store_b128 v157, v[56:59]
	ds_store_b128 v157, v[61:64] offset:1568
	ds_store_b128 v157, v[65:68] offset:3136
	;; [unrolled: 1-line block ×13, first 2 shown]
	global_wb scope:SCOPE_SE
	s_wait_dscnt 0x0
	s_wait_kmcnt 0x0
	s_barrier_signal -1
	s_barrier_wait -1
	global_inv scope:SCOPE_SE
	ds_load_b128 v[56:59], v157 offset:9408
	ds_load_b128 v[61:64], v157 offset:1568
	;; [unrolled: 1-line block ×12, first 2 shown]
	s_wait_dscnt 0xa
	v_add_f64_e32 v[105:106], v[61:62], v[56:57]
	v_add_f64_e32 v[107:108], v[63:64], v[58:59]
	s_wait_dscnt 0x8
	v_add_f64_e32 v[109:110], v[65:66], v[69:70]
	v_add_f64_e32 v[111:112], v[67:68], v[71:72]
	;; [unrolled: 3-line block ×5, first 2 shown]
	v_add_f64_e64 v[65:66], v[65:66], -v[69:70]
	v_add_f64_e64 v[67:68], v[67:68], -v[71:72]
	;; [unrolled: 1-line block ×8, first 2 shown]
	s_wait_dscnt 0x0
	v_add_f64_e32 v[61:62], v[97:98], v[101:102]
	v_add_f64_e32 v[63:64], v[99:100], v[103:104]
	v_add_f64_e64 v[85:86], v[101:102], -v[97:98]
	v_add_f64_e64 v[87:88], v[103:104], -v[99:100]
	;; [unrolled: 1-line block ×4, first 2 shown]
	v_add_f64_e32 v[56:57], v[109:110], v[105:106]
	v_add_f64_e32 v[58:59], v[111:112], v[107:108]
	;; [unrolled: 1-line block ×4, first 2 shown]
	v_add_f64_e64 v[93:94], v[105:106], -v[121:122]
	v_add_f64_e64 v[95:96], v[107:108], -v[123:124]
	;; [unrolled: 1-line block ×18, first 2 shown]
	v_add_f64_e32 v[65:66], v[69:70], v[65:66]
	v_add_f64_e32 v[67:68], v[71:72], v[67:68]
	v_add_f64_e64 v[69:70], v[89:90], -v[69:70]
	v_add_f64_e64 v[71:72], v[91:92], -v[71:72]
	v_add_f64_e32 v[81:82], v[85:86], v[81:82]
	v_add_f64_e32 v[83:84], v[87:88], v[83:84]
	v_add_f64_e64 v[85:86], v[73:74], -v[85:86]
	v_add_f64_e64 v[87:88], v[75:76], -v[87:88]
	;; [unrolled: 1-line block ×4, first 2 shown]
	v_add_f64_e32 v[121:122], v[121:122], v[56:57]
	v_add_f64_e32 v[123:124], v[123:124], v[58:59]
	ds_load_b128 v[56:59], v157
	v_add_f64_e32 v[77:78], v[61:62], v[77:78]
	v_add_f64_e32 v[79:80], v[63:64], v[79:80]
	ds_load_b128 v[61:64], v157 offset:784
	v_mul_f64_e32 v[93:94], s[22:23], v[93:94]
	v_mul_f64_e32 v[95:96], s[22:23], v[95:96]
	s_wait_alu 0xfffe
	v_mul_f64_e32 v[109:110], s[2:3], v[97:98]
	v_mul_f64_e32 v[111:112], s[2:3], v[99:100]
	v_mul_f64_e32 v[101:102], s[20:21], v[101:102]
	v_mul_f64_e32 v[103:104], s[20:21], v[103:104]
	v_mul_f64_e32 v[145:146], s[12:13], v[125:126]
	v_mul_f64_e32 v[147:148], s[12:13], v[127:128]
	global_wb scope:SCOPE_SE
	s_wait_dscnt 0x0
	v_mul_f64_e32 v[129:130], s[22:23], v[129:130]
	v_mul_f64_e32 v[131:132], s[22:23], v[131:132]
	;; [unrolled: 1-line block ×8, first 2 shown]
	v_add_f64_e32 v[65:66], v[65:66], v[89:90]
	v_add_f64_e32 v[67:68], v[67:68], v[91:92]
	s_barrier_signal -1
	s_barrier_wait -1
	v_add_f64_e32 v[73:74], v[81:82], v[73:74]
	v_add_f64_e32 v[75:76], v[83:84], v[75:76]
	global_inv scope:SCOPE_SE
	v_add_f64_e32 v[56:57], v[56:57], v[121:122]
	v_add_f64_e32 v[58:59], v[58:59], v[123:124]
	;; [unrolled: 1-line block ×4, first 2 shown]
	v_fma_f64 v[81:82], v[97:98], s[2:3], v[93:94]
	v_fma_f64 v[83:84], v[99:100], s[2:3], v[95:96]
	v_fma_f64 v[89:90], v[105:106], s[16:17], -v[109:110]
	v_fma_f64 v[91:92], v[107:108], s[16:17], -v[111:112]
	v_fma_f64 v[97:98], v[69:70], s[24:25], v[101:102]
	v_fma_f64 v[99:100], v[71:72], s[24:25], v[103:104]
	;; [unrolled: 1-line block ×4, first 2 shown]
	v_fma_f64 v[93:94], v[105:106], s[18:19], -v[93:94]
	v_fma_f64 v[95:96], v[107:108], s[18:19], -v[95:96]
	v_fma_f64 v[101:102], v[125:126], s[28:29], -v[101:102]
	v_fma_f64 v[103:104], v[127:128], s[28:29], -v[103:104]
	v_fma_f64 v[105:106], v[141:142], s[2:3], v[129:130]
	v_fma_f64 v[107:108], v[143:144], s[2:3], v[131:132]
	v_fma_f64 v[125:126], v[137:138], s[28:29], -v[133:134]
	v_fma_f64 v[127:128], v[139:140], s[28:29], -v[135:136]
	;; [unrolled: 1-line block ×6, first 2 shown]
	v_and_b32_e32 v117, 0xff, v154
	v_lshrrev_b16 v141, 8, v153
	s_delay_alu instid0(VALU_DEP_2) | instskip(NEXT) | instid1(VALU_DEP_2)
	v_mul_lo_u16 v117, v117, 37
	v_sub_nc_u16 v118, v60, v141
	s_delay_alu instid0(VALU_DEP_2)
	v_lshrrev_b16 v142, 8, v117
	v_fma_f64 v[109:110], v[121:122], s[14:15], v[56:57]
	v_fma_f64 v[111:112], v[123:124], s[14:15], v[58:59]
	;; [unrolled: 1-line block ×8, first 2 shown]
	v_lshrrev_b16 v143, 1, v118
	v_fma_f64 v[97:98], v[65:66], s[30:31], v[97:98]
	v_fma_f64 v[99:100], v[67:68], s[30:31], v[99:100]
	;; [unrolled: 1-line block ×6, first 2 shown]
	v_sub_nc_u16 v65, v154, v142
	v_and_b32_e32 v66, 0x7f, v143
	s_delay_alu instid0(VALU_DEP_2) | instskip(NEXT) | instid1(VALU_DEP_2)
	v_lshrrev_b16 v65, 1, v65
	v_add_nc_u16 v66, v66, v141
	s_delay_alu instid0(VALU_DEP_2) | instskip(NEXT) | instid1(VALU_DEP_1)
	v_and_b32_e32 v65, 0x7f, v65
	v_add_nc_u16 v141, v65, v142
	v_add_f64_e32 v[133:134], v[81:82], v[109:110]
	v_add_f64_e32 v[135:136], v[83:84], v[111:112]
	;; [unrolled: 1-line block ×6, first 2 shown]
	v_fma_f64 v[121:122], v[73:74], s[30:31], v[121:122]
	v_fma_f64 v[123:124], v[75:76], s[30:31], v[123:124]
	v_add_f64_e32 v[105:106], v[105:106], v[77:78]
	v_add_f64_e32 v[139:140], v[107:108], v[79:80]
	v_fma_f64 v[110:111], v[73:74], s[30:31], v[125:126]
	v_fma_f64 v[125:126], v[75:76], s[30:31], v[127:128]
	;; [unrolled: 1-line block ×4, first 2 shown]
	v_add_f64_e32 v[129:130], v[129:130], v[77:78]
	v_add_f64_e32 v[131:132], v[131:132], v[79:80]
	;; [unrolled: 1-line block ×4, first 2 shown]
	v_lshrrev_b16 v107, 2, v66
	s_delay_alu instid0(VALU_DEP_1) | instskip(SKIP_1) | instid1(VALU_DEP_1)
	v_mul_lo_u16 v142, v107, 7
	v_and_b32_e32 v107, 0xffff, v107
	v_mul_u32_u24_e32 v107, 49, v107
	v_add_f64_e32 v[65:66], v[133:134], v[99:100]
	v_add_f64_e64 v[67:68], v[135:136], -v[97:98]
	v_add_f64_e32 v[69:70], v[81:82], v[119:120]
	v_add_f64_e64 v[71:72], v[83:84], -v[117:118]
	v_add_f64_e64 v[73:74], v[89:90], -v[103:104]
	v_add_f64_e32 v[75:76], v[101:102], v[91:92]
	v_add_f64_e32 v[77:78], v[89:90], v[103:104]
	v_add_f64_e64 v[79:80], v[91:92], -v[101:102]
	v_add_f64_e64 v[81:82], v[81:82], -v[119:120]
	v_add_f64_e32 v[83:84], v[117:118], v[83:84]
	v_add_f64_e64 v[85:86], v[133:134], -v[99:100]
	v_add_f64_e32 v[87:88], v[97:98], v[135:136]
	v_add_f64_e32 v[89:90], v[105:106], v[123:124]
	v_add_f64_e64 v[91:92], v[139:140], -v[121:122]
	v_add_f64_e32 v[93:94], v[129:130], v[137:138]
	v_add_f64_e64 v[95:96], v[131:132], -v[127:128]
	v_add_f64_e64 v[97:98], v[108:109], -v[125:126]
	v_add_f64_e32 v[99:100], v[110:111], v[112:113]
	v_add_f64_e32 v[108:109], v[108:109], v[125:126]
	v_add_f64_e64 v[110:111], v[112:113], -v[110:111]
	v_add_f64_e64 v[112:113], v[129:130], -v[137:138]
	v_add_f64_e32 v[114:115], v[127:128], v[131:132]
	v_add_f64_e64 v[116:117], v[105:106], -v[123:124]
	v_add_f64_e32 v[118:119], v[121:122], v[139:140]
	v_sub_nc_u16 v101, v60, v142
	v_lshrrev_b16 v106, 2, v141
	v_mul_lo_u16 v60, v60, 7
	s_delay_alu instid0(VALU_DEP_3) | instskip(NEXT) | instid1(VALU_DEP_3)
	v_and_b32_e32 v104, 0xff, v101
	v_mul_lo_u16 v102, v106, 7
	s_delay_alu instid0(VALU_DEP_3)
	v_and_b32_e32 v60, 0xffff, v60
	v_mul_u32_u24_e32 v101, 7, v154
	v_and_b32_e32 v106, 0xffff, v106
	v_mul_u32_u24_e32 v103, 6, v104
	v_sub_nc_u16 v102, v154, v102
	v_lshlrev_b32_e32 v160, 4, v60
	v_lshlrev_b32_e32 v159, 4, v101
	ds_store_b128 v160, v[56:59]
	ds_store_b128 v160, v[65:68] offset:16
	ds_store_b128 v160, v[69:72] offset:32
	;; [unrolled: 1-line block ×6, first 2 shown]
	ds_store_b128 v159, v[61:64]
	ds_store_b128 v159, v[89:92] offset:16
	ds_store_b128 v159, v[93:96] offset:32
	;; [unrolled: 1-line block ×6, first 2 shown]
	v_lshlrev_b32_e32 v120, 4, v103
	v_and_b32_e32 v105, 0xff, v102
	global_wb scope:SCOPE_SE
	s_wait_dscnt 0x0
	s_barrier_signal -1
	s_barrier_wait -1
	global_inv scope:SCOPE_SE
	s_clause 0x3
	global_load_b128 v[76:79], v120, s[10:11]
	global_load_b128 v[64:67], v120, s[10:11] offset:16
	global_load_b128 v[60:63], v120, s[10:11] offset:80
	;; [unrolled: 1-line block ×3, first 2 shown]
	v_mul_u32_u24_e32 v68, 6, v105
	v_mul_u32_u24_e32 v106, 49, v106
	s_delay_alu instid0(VALU_DEP_2)
	v_lshlrev_b32_e32 v80, 4, v68
	s_clause 0x7
	global_load_b128 v[72:75], v80, s[10:11]
	global_load_b128 v[68:71], v80, s[10:11] offset:16
	global_load_b128 v[88:91], v80, s[10:11] offset:80
	;; [unrolled: 1-line block ×7, first 2 shown]
	ds_load_b128 v[108:111], v157 offset:1568
	ds_load_b128 v[112:115], v157 offset:3136
	;; [unrolled: 1-line block ×12, first 2 shown]
	s_wait_loadcnt_dscnt 0xa0a
	v_mul_f64_e32 v[165:166], v[114:115], v[66:67]
	v_mul_f64_e32 v[161:162], v[110:111], v[78:79]
	;; [unrolled: 1-line block ×4, first 2 shown]
	s_wait_loadcnt_dscnt 0x909
	v_mul_f64_e32 v[169:170], v[118:119], v[62:63]
	v_mul_f64_e32 v[171:172], v[116:117], v[62:63]
	s_wait_loadcnt_dscnt 0x808
	v_mul_f64_e32 v[173:174], v[122:123], v[58:59]
	v_mul_f64_e32 v[175:176], v[120:121], v[58:59]
	;; [unrolled: 3-line block ×7, first 2 shown]
	s_wait_loadcnt 0x2
	v_mul_f64_e32 v[197:198], v[142:143], v[94:95]
	v_mul_f64_e32 v[199:200], v[140:141], v[94:95]
	v_fma_f64 v[112:113], v[112:113], v[64:65], -v[165:166]
	v_fma_f64 v[108:109], v[108:109], v[76:77], -v[161:162]
	v_fma_f64 v[110:111], v[110:111], v[76:77], v[163:164]
	v_fma_f64 v[114:115], v[114:115], v[64:65], v[167:168]
	v_fma_f64 v[116:117], v[116:117], v[60:61], -v[169:170]
	v_fma_f64 v[118:119], v[118:119], v[60:61], v[171:172]
	v_fma_f64 v[120:121], v[120:121], v[56:57], -v[173:174]
	v_fma_f64 v[122:123], v[122:123], v[56:57], v[175:176]
	s_wait_loadcnt_dscnt 0x101
	v_mul_f64_e32 v[161:162], v[150:151], v[86:87]
	v_mul_f64_e32 v[163:164], v[148:149], v[86:87]
	s_wait_loadcnt_dscnt 0x0
	v_mul_f64_e32 v[165:166], v[154:155], v[82:83]
	v_mul_f64_e32 v[167:168], v[152:153], v[82:83]
	v_fma_f64 v[124:125], v[124:125], v[72:73], -v[177:178]
	v_fma_f64 v[126:127], v[126:127], v[72:73], v[179:180]
	v_fma_f64 v[128:129], v[128:129], v[68:69], -v[181:182]
	v_fma_f64 v[130:131], v[130:131], v[68:69], v[183:184]
	;; [unrolled: 2-line block ×6, first 2 shown]
	v_add_f64_e32 v[169:170], v[108:109], v[116:117]
	v_add_f64_e32 v[171:172], v[110:111], v[118:119]
	;; [unrolled: 1-line block ×4, first 2 shown]
	v_fma_f64 v[148:149], v[148:149], v[84:85], -v[161:162]
	v_fma_f64 v[150:151], v[150:151], v[84:85], v[163:164]
	v_fma_f64 v[152:153], v[152:153], v[80:81], -v[165:166]
	v_fma_f64 v[154:155], v[154:155], v[80:81], v[167:168]
	v_add_f64_e64 v[120:121], v[112:113], -v[120:121]
	v_add_f64_e64 v[122:123], v[114:115], -v[122:123]
	;; [unrolled: 1-line block ×4, first 2 shown]
	v_add_f64_e32 v[161:162], v[124:125], v[132:133]
	v_add_f64_e32 v[163:164], v[126:127], v[134:135]
	;; [unrolled: 1-line block ×4, first 2 shown]
	v_add_f64_e64 v[128:129], v[128:129], -v[136:137]
	v_add_f64_e64 v[130:131], v[130:131], -v[138:139]
	v_add_f64_e32 v[177:178], v[144:145], v[140:141]
	v_add_f64_e32 v[179:180], v[146:147], v[142:143]
	v_add_f64_e64 v[140:141], v[140:141], -v[144:145]
	v_add_f64_e64 v[142:143], v[142:143], -v[146:147]
	;; [unrolled: 1-line block ×4, first 2 shown]
	v_add_f64_e32 v[108:109], v[173:174], v[169:170]
	v_add_f64_e32 v[110:111], v[175:176], v[171:172]
	;; [unrolled: 1-line block ×4, first 2 shown]
	v_add_f64_e64 v[136:137], v[152:153], -v[148:149]
	v_add_f64_e64 v[138:139], v[154:155], -v[150:151]
	v_add_f64_e64 v[181:182], v[120:121], -v[116:117]
	v_add_f64_e64 v[183:184], v[122:123], -v[118:119]
	v_add_f64_e32 v[132:133], v[165:166], v[161:162]
	v_add_f64_e32 v[134:135], v[167:168], v[163:164]
	v_add_f64_e64 v[144:145], v[169:170], -v[177:178]
	v_add_f64_e64 v[146:147], v[171:172], -v[179:180]
	;; [unrolled: 1-line block ×10, first 2 shown]
	v_add_f64_e32 v[120:121], v[140:141], v[120:121]
	v_add_f64_e32 v[122:123], v[142:143], v[122:123]
	v_add_f64_e64 v[140:141], v[116:117], -v[140:141]
	v_add_f64_e64 v[142:143], v[118:119], -v[142:143]
	v_add_f64_e32 v[177:178], v[177:178], v[108:109]
	v_add_f64_e32 v[179:180], v[179:180], v[110:111]
	v_add_f64_e64 v[185:186], v[161:162], -v[112:113]
	v_add_f64_e64 v[187:188], v[163:164], -v[114:115]
	;; [unrolled: 1-line block ×6, first 2 shown]
	v_add_f64_e32 v[128:129], v[136:137], v[128:129]
	v_add_f64_e32 v[130:131], v[138:139], v[130:131]
	;; [unrolled: 1-line block ×4, first 2 shown]
	ds_load_b128 v[108:111], v157
	ds_load_b128 v[112:115], v157 offset:784
	v_mul_f64_e32 v[201:202], s[12:13], v[181:182]
	v_mul_f64_e32 v[144:145], s[22:23], v[144:145]
	;; [unrolled: 1-line block ×8, first 2 shown]
	v_add_f64_e64 v[136:137], v[124:125], -v[136:137]
	v_add_f64_e64 v[138:139], v[126:127], -v[138:139]
	v_mul_f64_e32 v[205:206], s[12:13], v[193:194]
	v_mul_f64_e32 v[207:208], s[12:13], v[195:196]
	v_add_f64_e64 v[161:162], v[165:166], -v[161:162]
	v_add_f64_e64 v[163:164], v[167:168], -v[163:164]
	v_add_f64_e32 v[116:117], v[120:121], v[116:117]
	v_add_f64_e32 v[118:119], v[122:123], v[118:119]
	global_wb scope:SCOPE_SE
	s_wait_dscnt 0x0
	s_barrier_signal -1
	s_barrier_wait -1
	global_inv scope:SCOPE_SE
	v_add_f64_e32 v[108:109], v[108:109], v[177:178]
	v_add_f64_e32 v[110:111], v[110:111], v[179:180]
	v_mul_f64_e32 v[185:186], s[22:23], v[185:186]
	v_mul_f64_e32 v[187:188], s[22:23], v[187:188]
	;; [unrolled: 1-line block ×6, first 2 shown]
	v_add_f64_e32 v[120:121], v[128:129], v[124:125]
	v_add_f64_e32 v[122:123], v[130:131], v[126:127]
	;; [unrolled: 1-line block ×4, first 2 shown]
	v_fma_f64 v[124:125], v[148:149], s[2:3], v[144:145]
	v_fma_f64 v[126:127], v[150:151], s[2:3], v[146:147]
	v_fma_f64 v[128:129], v[169:170], s[16:17], -v[173:174]
	v_fma_f64 v[130:131], v[171:172], s[16:17], -v[175:176]
	v_fma_f64 v[148:149], v[140:141], s[24:25], v[152:153]
	v_fma_f64 v[150:151], v[142:143], s[24:25], v[154:155]
	;; [unrolled: 1-line block ×4, first 2 shown]
	v_fma_f64 v[144:145], v[169:170], s[18:19], -v[144:145]
	v_fma_f64 v[146:147], v[171:172], s[18:19], -v[146:147]
	;; [unrolled: 1-line block ×4, first 2 shown]
	v_fma_f64 v[173:174], v[177:178], s[14:15], v[108:109]
	v_fma_f64 v[175:176], v[179:180], s[14:15], v[110:111]
	;; [unrolled: 1-line block ×6, first 2 shown]
	v_fma_f64 v[181:182], v[193:194], s[28:29], -v[189:190]
	v_fma_f64 v[183:184], v[195:196], s[28:29], -v[191:192]
	v_fma_f64 v[136:137], v[136:137], s[26:27], v[205:206]
	v_fma_f64 v[138:139], v[138:139], s[26:27], v[207:208]
	v_fma_f64 v[132:133], v[132:133], s[14:15], v[112:113]
	v_fma_f64 v[134:135], v[134:135], s[14:15], v[114:115]
	v_fma_f64 v[185:186], v[161:162], s[18:19], -v[185:186]
	v_fma_f64 v[187:188], v[163:164], s[18:19], -v[187:188]
	;; [unrolled: 1-line block ×4, first 2 shown]
	v_fma_f64 v[148:149], v[116:117], s[30:31], v[148:149]
	v_fma_f64 v[150:151], v[118:119], s[30:31], v[150:151]
	;; [unrolled: 1-line block ×6, first 2 shown]
	v_add_f64_e32 v[165:166], v[124:125], v[173:174]
	v_add_f64_e32 v[167:168], v[126:127], v[175:176]
	;; [unrolled: 1-line block ×6, first 2 shown]
	v_fma_f64 v[175:176], v[120:121], s[30:31], v[177:178]
	v_fma_f64 v[177:178], v[122:123], s[30:31], v[179:180]
	;; [unrolled: 1-line block ×6, first 2 shown]
	v_add_f64_e32 v[191:192], v[169:170], v[132:133]
	v_add_f64_e32 v[193:194], v[171:172], v[134:135]
	;; [unrolled: 1-line block ×7, first 2 shown]
	v_add_f64_e64 v[118:119], v[167:168], -v[148:149]
	v_add_f64_e32 v[120:121], v[142:143], v[144:145]
	v_add_f64_e64 v[122:123], v[146:147], -v[140:141]
	v_add_f64_e64 v[124:125], v[128:129], -v[154:155]
	v_add_f64_e32 v[126:127], v[152:153], v[173:174]
	v_add_f64_e32 v[130:131], v[154:155], v[128:129]
	v_add_f64_e64 v[132:133], v[173:174], -v[152:153]
	v_add_f64_e64 v[134:135], v[144:145], -v[142:143]
	v_add_f64_e32 v[136:137], v[140:141], v[146:147]
	v_add_f64_e64 v[138:139], v[165:166], -v[150:151]
	v_add_f64_e32 v[140:141], v[148:149], v[167:168]
	v_add_f64_e32 v[142:143], v[177:178], v[191:192]
	v_add_f64_e64 v[144:145], v[193:194], -v[175:176]
	v_add_f64_e32 v[146:147], v[189:190], v[169:170]
	v_add_f64_e64 v[148:149], v[171:172], -v[183:184]
	v_add_f64_e64 v[150:151], v[161:162], -v[181:182]
	v_add_f64_e32 v[152:153], v[179:180], v[185:186]
	v_add_f64_e32 v[163:164], v[181:182], v[161:162]
	v_add_f64_e64 v[165:166], v[185:186], -v[179:180]
	v_add_f64_e64 v[167:168], v[169:170], -v[189:190]
	v_add_f64_e32 v[169:170], v[183:184], v[171:172]
	v_add_f64_e64 v[171:172], v[191:192], -v[177:178]
	v_add_f64_e32 v[173:174], v[175:176], v[193:194]
	v_mad_co_u64_u32 v[128:129], null, 0x60, v158, s[10:11]
	v_add_lshl_u32 v162, v107, v104, 4
	v_add_lshl_u32 v161, v106, v105, 4
	ds_store_b128 v162, v[108:111]
	ds_store_b128 v162, v[116:119] offset:112
	ds_store_b128 v162, v[120:123] offset:224
	ds_store_b128 v162, v[124:127] offset:336
	ds_store_b128 v162, v[130:133] offset:448
	ds_store_b128 v162, v[134:137] offset:560
	ds_store_b128 v162, v[138:141] offset:672
	ds_store_b128 v161, v[112:115]
	ds_store_b128 v161, v[142:145] offset:112
	ds_store_b128 v161, v[146:149] offset:224
	;; [unrolled: 1-line block ×6, first 2 shown]
	global_wb scope:SCOPE_SE
	s_wait_dscnt 0x0
	s_barrier_signal -1
	s_barrier_wait -1
	global_inv scope:SCOPE_SE
	s_clause 0x5
	global_load_b128 v[108:111], v[128:129], off offset:672
	global_load_b128 v[104:107], v[128:129], off offset:688
	;; [unrolled: 1-line block ×6, first 2 shown]
	ds_load_b128 v[130:133], v157 offset:1568
	ds_load_b128 v[134:137], v157 offset:3136
	;; [unrolled: 1-line block ×12, first 2 shown]
	s_wait_loadcnt_dscnt 0x50b
	v_mul_f64_e32 v[154:155], v[132:133], v[110:111]
	v_mul_f64_e32 v[187:188], v[130:131], v[110:111]
	s_wait_loadcnt_dscnt 0x40a
	v_mul_f64_e32 v[189:190], v[136:137], v[106:107]
	v_mul_f64_e32 v[191:192], v[134:135], v[106:107]
	;; [unrolled: 3-line block ×4, first 2 shown]
	s_wait_dscnt 0x7
	v_mul_f64_e32 v[201:202], v[148:149], v[110:111]
	v_mul_f64_e32 v[203:204], v[146:147], v[110:111]
	s_wait_dscnt 0x6
	v_mul_f64_e32 v[205:206], v[152:153], v[106:107]
	v_mul_f64_e32 v[207:208], v[150:151], v[106:107]
	s_wait_dscnt 0x5
	v_mul_f64_e32 v[209:210], v[165:166], v[122:123]
	v_mul_f64_e32 v[211:212], v[163:164], v[122:123]
	s_wait_dscnt 0x4
	v_mul_f64_e32 v[213:214], v[169:170], v[126:127]
	v_mul_f64_e32 v[215:216], v[167:168], v[126:127]
	s_wait_loadcnt_dscnt 0x103
	v_mul_f64_e32 v[217:218], v[173:174], v[118:119]
	v_mul_f64_e32 v[219:220], v[171:172], v[118:119]
	s_wait_loadcnt_dscnt 0x1
	v_mul_f64_e32 v[221:222], v[181:182], v[114:115]
	v_mul_f64_e32 v[223:224], v[179:180], v[114:115]
	;; [unrolled: 1-line block ×3, first 2 shown]
	v_fma_f64 v[130:131], v[130:131], v[108:109], -v[154:155]
	v_fma_f64 v[132:133], v[132:133], v[108:109], v[187:188]
	v_mul_f64_e32 v[154:155], v[175:176], v[118:119]
	s_wait_dscnt 0x0
	v_mul_f64_e32 v[187:188], v[185:186], v[114:115]
	v_fma_f64 v[134:135], v[134:135], v[104:105], -v[189:190]
	v_fma_f64 v[136:137], v[136:137], v[104:105], v[191:192]
	v_mul_f64_e32 v[189:190], v[183:184], v[114:115]
	v_fma_f64 v[138:139], v[138:139], v[120:121], -v[193:194]
	v_fma_f64 v[140:141], v[140:141], v[120:121], v[195:196]
	v_fma_f64 v[142:143], v[142:143], v[124:125], -v[197:198]
	v_fma_f64 v[144:145], v[144:145], v[124:125], v[199:200]
	v_fma_f64 v[146:147], v[146:147], v[108:109], -v[201:202]
	v_fma_f64 v[148:149], v[148:149], v[108:109], v[203:204]
	v_fma_f64 v[150:151], v[150:151], v[104:105], -v[205:206]
	v_fma_f64 v[152:153], v[152:153], v[104:105], v[207:208]
	v_fma_f64 v[163:164], v[163:164], v[120:121], -v[209:210]
	v_fma_f64 v[165:166], v[165:166], v[120:121], v[211:212]
	v_fma_f64 v[167:168], v[167:168], v[124:125], -v[213:214]
	v_fma_f64 v[169:170], v[169:170], v[124:125], v[215:216]
	v_fma_f64 v[171:172], v[171:172], v[116:117], -v[217:218]
	v_fma_f64 v[173:174], v[173:174], v[116:117], v[219:220]
	v_fma_f64 v[179:180], v[179:180], v[112:113], -v[221:222]
	v_fma_f64 v[181:182], v[181:182], v[112:113], v[223:224]
	v_fma_f64 v[175:176], v[175:176], v[116:117], -v[225:226]
	v_fma_f64 v[154:155], v[177:178], v[116:117], v[154:155]
	v_fma_f64 v[177:178], v[183:184], v[112:113], -v[187:188]
	v_fma_f64 v[183:184], v[185:186], v[112:113], v[189:190]
	v_add_f64_e32 v[185:186], v[130:131], v[138:139]
	v_add_f64_e32 v[187:188], v[132:133], v[140:141]
	;; [unrolled: 1-line block ×4, first 2 shown]
	v_add_f64_e64 v[134:135], v[134:135], -v[142:143]
	v_add_f64_e64 v[142:143], v[136:137], -v[144:145]
	;; [unrolled: 1-line block ×4, first 2 shown]
	v_add_f64_e32 v[193:194], v[146:147], v[163:164]
	v_add_f64_e32 v[195:196], v[148:149], v[165:166]
	;; [unrolled: 1-line block ×4, first 2 shown]
	v_add_f64_e64 v[150:151], v[150:151], -v[167:168]
	v_add_f64_e64 v[152:153], v[152:153], -v[169:170]
	v_add_f64_e32 v[201:202], v[171:172], v[179:180]
	v_add_f64_e32 v[203:204], v[173:174], v[181:182]
	v_add_f64_e64 v[144:145], v[179:180], -v[171:172]
	v_add_f64_e64 v[171:172], v[181:182], -v[173:174]
	;; [unrolled: 1-line block ×4, first 2 shown]
	v_add_f64_e32 v[173:174], v[175:176], v[177:178]
	v_add_f64_e64 v[167:168], v[177:178], -v[175:176]
	v_add_f64_e32 v[179:180], v[154:155], v[183:184]
	v_add_f64_e64 v[154:155], v[183:184], -v[154:155]
	v_add_f64_e32 v[136:137], v[189:190], v[185:186]
	v_add_f64_e32 v[181:182], v[191:192], v[187:188]
	v_add_f64_e64 v[209:210], v[142:143], -v[140:141]
	v_add_f64_e32 v[205:206], v[197:198], v[193:194]
	v_add_f64_e32 v[207:208], v[199:200], v[195:196]
	v_add_f64_e64 v[163:164], v[185:186], -v[201:202]
	v_add_f64_e64 v[165:166], v[187:188], -v[203:204]
	;; [unrolled: 1-line block ×7, first 2 shown]
	v_add_f64_e32 v[221:222], v[144:145], v[134:135]
	v_add_f64_e64 v[223:224], v[152:153], -v[148:149]
	v_add_f64_e32 v[142:143], v[171:172], v[142:143]
	v_add_f64_e64 v[185:186], v[189:190], -v[185:186]
	v_add_f64_e64 v[187:188], v[191:192], -v[187:188]
	;; [unrolled: 1-line block ×7, first 2 shown]
	v_add_f64_e32 v[150:151], v[167:168], v[150:151]
	v_add_f64_e64 v[213:214], v[195:196], -v[179:180]
	v_add_f64_e64 v[217:218], v[154:155], -v[152:153]
	v_add_f64_e32 v[152:153], v[154:155], v[152:153]
	v_add_f64_e32 v[201:202], v[201:202], v[136:137]
	v_add_f64_e32 v[181:182], v[203:204], v[181:182]
	v_add_f64_e64 v[167:168], v[146:147], -v[167:168]
	v_add_f64_e64 v[154:155], v[148:149], -v[154:155]
	;; [unrolled: 1-line block ×3, first 2 shown]
	v_mul_f64_e32 v[225:226], s[12:13], v[209:210]
	v_add_f64_e32 v[203:204], v[173:174], v[205:206]
	v_add_f64_e32 v[205:206], v[179:180], v[207:208]
	v_add_f64_e64 v[207:208], v[134:135], -v[138:139]
	v_add_f64_e64 v[173:174], v[173:174], -v[197:198]
	;; [unrolled: 1-line block ×3, first 2 shown]
	ds_load_b128 v[130:133], v157
	ds_load_b128 v[134:137], v157 offset:784
	v_mul_f64_e32 v[163:164], s[22:23], v[163:164]
	v_mul_f64_e32 v[165:166], s[22:23], v[165:166]
	v_mul_f64_e32 v[191:192], s[2:3], v[169:170]
	v_mul_f64_e32 v[177:178], s[20:21], v[177:178]
	v_mul_f64_e32 v[183:184], s[20:21], v[183:184]
	v_mul_f64_e32 v[193:194], s[2:3], v[175:176]
	v_mul_f64_e32 v[199:200], s[12:13], v[219:220]
	v_add_f64_e32 v[138:139], v[221:222], v[138:139]
	v_mul_f64_e32 v[221:222], s[12:13], v[223:224]
	v_add_f64_e32 v[140:141], v[142:143], v[140:141]
	global_wb scope:SCOPE_SE
	s_wait_dscnt 0x0
	s_barrier_signal -1
	s_barrier_wait -1
	global_inv scope:SCOPE_SE
	v_mul_f64_e32 v[211:212], s[22:23], v[211:212]
	v_mul_f64_e32 v[215:216], s[20:21], v[215:216]
	v_add_f64_e32 v[146:147], v[150:151], v[146:147]
	v_mul_f64_e32 v[213:214], s[22:23], v[213:214]
	v_mul_f64_e32 v[217:218], s[20:21], v[217:218]
	v_add_f64_e32 v[148:149], v[152:153], v[148:149]
	v_add_f64_e32 v[130:131], v[130:131], v[201:202]
	;; [unrolled: 1-line block ×3, first 2 shown]
	s_mov_b32 s21, 0x3fe11646
	v_add_f64_e32 v[134:135], v[134:135], v[203:204]
	v_add_f64_e32 v[136:137], v[136:137], v[205:206]
	v_mul_f64_e32 v[197:198], s[12:13], v[207:208]
	v_mul_f64_e32 v[142:143], s[2:3], v[173:174]
	;; [unrolled: 1-line block ×3, first 2 shown]
	v_fma_f64 v[152:153], v[169:170], s[2:3], v[163:164]
	v_fma_f64 v[169:170], v[175:176], s[2:3], v[165:166]
	v_fma_f64 v[175:176], v[185:186], s[16:17], -v[191:192]
	v_fma_f64 v[191:192], v[144:145], s[24:25], v[177:178]
	v_fma_f64 v[177:178], v[207:208], s[28:29], -v[177:178]
	v_fma_f64 v[207:208], v[171:172], s[24:25], v[183:184]
	v_fma_f64 v[171:172], v[171:172], s[26:27], v[225:226]
	v_fma_f64 v[163:164], v[185:186], s[18:19], -v[163:164]
	v_fma_f64 v[165:166], v[187:188], s[18:19], -v[165:166]
	;; [unrolled: 1-line block ×4, first 2 shown]
	v_fma_f64 v[173:174], v[173:174], s[2:3], v[211:212]
	v_fma_f64 v[185:186], v[167:168], s[24:25], v[215:216]
	;; [unrolled: 1-line block ×5, first 2 shown]
	v_fma_f64 v[209:210], v[223:224], s[28:29], -v[217:218]
	v_fma_f64 v[154:155], v[154:155], s[26:27], v[221:222]
	v_fma_f64 v[181:182], v[181:182], s[14:15], v[132:133]
	;; [unrolled: 1-line block ×6, first 2 shown]
	v_fma_f64 v[201:202], v[219:220], s[28:29], -v[215:216]
	v_fma_f64 v[205:206], v[189:190], s[18:19], -v[211:212]
	;; [unrolled: 1-line block ×5, first 2 shown]
	v_fma_f64 v[189:190], v[138:139], s[30:31], v[191:192]
	v_fma_f64 v[177:178], v[138:139], s[30:31], v[177:178]
	;; [unrolled: 1-line block ×6, first 2 shown]
	v_add_f64_e32 v[169:170], v[169:170], v[181:182]
	v_add_f64_e32 v[165:166], v[165:166], v[181:182]
	;; [unrolled: 1-line block ×3, first 2 shown]
	v_fma_f64 v[195:196], v[138:139], s[30:31], v[144:145]
	v_add_f64_e32 v[207:208], v[152:153], v[197:198]
	v_add_f64_e32 v[163:164], v[163:164], v[197:198]
	;; [unrolled: 1-line block ×4, first 2 shown]
	v_fma_f64 v[193:194], v[146:147], s[30:31], v[185:186]
	v_fma_f64 v[197:198], v[148:149], s[30:31], v[187:188]
	;; [unrolled: 1-line block ×3, first 2 shown]
	v_add_f64_e32 v[209:210], v[173:174], v[199:200]
	v_fma_f64 v[185:186], v[146:147], s[30:31], v[201:202]
	v_fma_f64 v[201:202], v[146:147], s[30:31], v[167:168]
	v_add_f64_e32 v[205:206], v[205:206], v[199:200]
	v_add_f64_e32 v[211:212], v[211:212], v[203:204]
	v_add_f64_e32 v[199:200], v[142:143], v[199:200]
	v_add_f64_e32 v[203:204], v[150:151], v[203:204]
	s_mov_b32 s31, 0xbfdc38aa
	v_add_f64_e64 v[140:141], v[169:170], -v[189:190]
	v_add_f64_e32 v[169:170], v[189:190], v[169:170]
	v_add_f64_e64 v[144:145], v[165:166], -v[195:196]
	v_add_f64_e32 v[138:139], v[191:192], v[207:208]
	v_add_f64_e32 v[142:143], v[171:172], v[163:164]
	v_add_f64_e64 v[146:147], v[152:153], -v[183:184]
	v_add_f64_e32 v[148:149], v[177:178], v[175:176]
	v_add_f64_e32 v[150:151], v[183:184], v[152:153]
	v_add_f64_e64 v[152:153], v[175:176], -v[177:178]
	v_add_f64_e64 v[163:164], v[163:164], -v[171:172]
	v_add_f64_e32 v[165:166], v[195:196], v[165:166]
	v_add_f64_e64 v[167:168], v[207:208], -v[191:192]
	v_add_f64_e32 v[171:172], v[197:198], v[209:210]
	;; [unrolled: 2-line block ×3, first 2 shown]
	v_add_f64_e64 v[177:178], v[211:212], -v[201:202]
	v_add_f64_e64 v[179:180], v[199:200], -v[187:188]
	v_add_f64_e32 v[181:182], v[185:186], v[203:204]
	v_add_f64_e32 v[183:184], v[187:188], v[199:200]
	v_add_f64_e64 v[185:186], v[203:204], -v[185:186]
	v_add_f64_e64 v[187:188], v[205:206], -v[154:155]
	v_add_f64_e32 v[189:190], v[201:202], v[211:212]
	v_add_f64_e64 v[191:192], v[209:210], -v[197:198]
	v_add_f64_e32 v[193:194], v[193:194], v[213:214]
	v_mul_i32_i24_e32 v154, 0xffffffb0, v158
	v_mul_hi_i32_i24_e32 v155, 0xffffffb0, v158
	ds_store_b128 v157, v[130:133]
	ds_store_b128 v157, v[134:137] offset:5488
	ds_store_b128 v157, v[138:141] offset:784
	;; [unrolled: 1-line block ×13, first 2 shown]
	v_add_co_u32 v154, vcc_lo, v128, v154
	s_wait_alu 0xfffd
	v_add_co_ci_u32_e32 v155, vcc_lo, v129, v155, vcc_lo
	global_wb scope:SCOPE_SE
	s_wait_dscnt 0x0
	s_barrier_signal -1
	s_barrier_wait -1
	global_inv scope:SCOPE_SE
	s_clause 0x6
	global_load_b128 v[128:131], v[154:155], off offset:5376
	global_load_b128 v[132:135], v[154:155], off offset:6160
	;; [unrolled: 1-line block ×7, first 2 shown]
	ds_load_b128 v[163:166], v157 offset:5488
	ds_load_b128 v[167:170], v157 offset:6272
	;; [unrolled: 1-line block ×7, first 2 shown]
	s_wait_loadcnt_dscnt 0x606
	v_mul_f64_e32 v[191:192], v[165:166], v[130:131]
	v_mul_f64_e32 v[193:194], v[163:164], v[130:131]
	s_wait_loadcnt_dscnt 0x505
	v_mul_f64_e32 v[195:196], v[169:170], v[134:135]
	v_mul_f64_e32 v[197:198], v[167:168], v[134:135]
	;; [unrolled: 3-line block ×7, first 2 shown]
	v_fma_f64 v[191:192], v[163:164], v[128:129], -v[191:192]
	v_fma_f64 v[193:194], v[165:166], v[128:129], v[193:194]
	v_fma_f64 v[195:196], v[167:168], v[132:133], -v[195:196]
	v_fma_f64 v[197:198], v[169:170], v[132:133], v[197:198]
	;; [unrolled: 2-line block ×7, first 2 shown]
	ds_load_b128 v[163:166], v157
	ds_load_b128 v[167:170], v157 offset:784
	ds_load_b128 v[171:174], v157 offset:1568
	;; [unrolled: 1-line block ×6, first 2 shown]
	s_wait_dscnt 0x6
	v_add_f64_e64 v[191:192], v[163:164], -v[191:192]
	v_add_f64_e64 v[193:194], v[165:166], -v[193:194]
	s_wait_dscnt 0x5
	v_add_f64_e64 v[195:196], v[167:168], -v[195:196]
	v_add_f64_e64 v[197:198], v[169:170], -v[197:198]
	;; [unrolled: 3-line block ×7, first 2 shown]
	v_fma_f64 v[163:164], v[163:164], 2.0, -v[191:192]
	v_fma_f64 v[165:166], v[165:166], 2.0, -v[193:194]
	;; [unrolled: 1-line block ×14, first 2 shown]
	ds_store_b128 v157, v[195:198] offset:6272
	ds_store_b128 v157, v[199:202] offset:7056
	;; [unrolled: 1-line block ×7, first 2 shown]
	ds_store_b128 v157, v[163:166]
	ds_store_b128 v157, v[167:170] offset:784
	ds_store_b128 v157, v[171:174] offset:1568
	;; [unrolled: 1-line block ×6, first 2 shown]
	global_wb scope:SCOPE_SE
	s_wait_dscnt 0x0
	s_barrier_signal -1
	s_barrier_wait -1
	global_inv scope:SCOPE_SE
	global_load_b128 v[163:166], v157, s[8:9] offset:10976
	s_add_nc_u64 s[8:9], s[8:9], 0x2ae0
	s_clause 0x7
	global_load_b128 v[167:170], v157, s[8:9] offset:1568
	global_load_b128 v[171:174], v157, s[8:9] offset:3136
	global_load_b128 v[175:178], v157, s[8:9] offset:4704
	global_load_b128 v[179:182], v157, s[8:9] offset:6272
	global_load_b128 v[183:186], v157, s[8:9] offset:7840
	global_load_b128 v[187:190], v157, s[8:9] offset:9408
	global_load_b128 v[191:194], v157, s[8:9] offset:784
	global_load_b128 v[195:198], v157, s[8:9] offset:2352
	ds_load_b128 v[199:202], v157
	ds_load_b128 v[203:206], v157 offset:1568
	ds_load_b128 v[207:210], v157 offset:3136
	global_load_b128 v[211:214], v157, s[8:9] offset:3920
	s_wait_loadcnt_dscnt 0x801
	v_mul_f64_e32 v[217:218], v[205:206], v[169:170]
	v_mul_f64_e32 v[169:170], v[203:204], v[169:170]
	;; [unrolled: 1-line block ×4, first 2 shown]
	s_delay_alu instid0(VALU_DEP_4) | instskip(NEXT) | instid1(VALU_DEP_4)
	v_fma_f64 v[203:204], v[203:204], v[167:168], -v[217:218]
	v_fma_f64 v[205:206], v[205:206], v[167:168], v[169:170]
	ds_load_b128 v[167:170], v157 offset:6272
	v_fma_f64 v[199:200], v[199:200], v[163:164], -v[215:216]
	s_wait_loadcnt_dscnt 0x701
	v_mul_f64_e32 v[215:216], v[209:210], v[173:174]
	v_mul_f64_e32 v[173:174], v[207:208], v[173:174]
	v_fma_f64 v[201:202], v[201:202], v[163:164], v[165:166]
	ds_load_b128 v[163:166], v157 offset:4704
	v_fma_f64 v[207:208], v[207:208], v[171:172], -v[215:216]
	v_fma_f64 v[209:210], v[209:210], v[171:172], v[173:174]
	global_load_b128 v[171:174], v157, s[8:9] offset:5488
	s_wait_loadcnt_dscnt 0x700
	v_mul_f64_e32 v[219:220], v[165:166], v[177:178]
	v_mul_f64_e32 v[177:178], v[163:164], v[177:178]
	s_delay_alu instid0(VALU_DEP_2) | instskip(NEXT) | instid1(VALU_DEP_2)
	v_fma_f64 v[163:164], v[163:164], v[175:176], -v[219:220]
	v_fma_f64 v[165:166], v[165:166], v[175:176], v[177:178]
	ds_load_b128 v[175:178], v157 offset:7840
	s_wait_loadcnt_dscnt 0x500
	v_mul_f64_e32 v[219:220], v[177:178], v[185:186]
	v_mul_f64_e32 v[185:186], v[175:176], v[185:186]
	s_delay_alu instid0(VALU_DEP_2) | instskip(NEXT) | instid1(VALU_DEP_2)
	v_fma_f64 v[175:176], v[175:176], v[183:184], -v[219:220]
	v_fma_f64 v[177:178], v[177:178], v[183:184], v[185:186]
	ds_load_b128 v[183:186], v157 offset:784
	v_mul_f64_e32 v[215:216], v[169:170], v[181:182]
	v_mul_f64_e32 v[181:182], v[167:168], v[181:182]
	s_wait_loadcnt_dscnt 0x300
	v_mul_f64_e32 v[219:220], v[185:186], v[193:194]
	v_mul_f64_e32 v[193:194], v[183:184], v[193:194]
	s_delay_alu instid0(VALU_DEP_4) | instskip(NEXT) | instid1(VALU_DEP_4)
	v_fma_f64 v[167:168], v[167:168], v[179:180], -v[215:216]
	v_fma_f64 v[169:170], v[169:170], v[179:180], v[181:182]
	ds_load_b128 v[179:182], v157 offset:9408
	global_load_b128 v[215:218], v157, s[8:9] offset:7056
	v_fma_f64 v[183:184], v[183:184], v[191:192], -v[219:220]
	v_fma_f64 v[185:186], v[185:186], v[191:192], v[193:194]
	ds_load_b128 v[191:194], v157 offset:2352
	s_wait_dscnt 0x1
	v_mul_f64_e32 v[221:222], v[181:182], v[189:190]
	v_mul_f64_e32 v[189:190], v[179:180], v[189:190]
	s_wait_loadcnt_dscnt 0x300
	v_mul_f64_e32 v[219:220], v[193:194], v[197:198]
	v_mul_f64_e32 v[197:198], v[191:192], v[197:198]
	s_delay_alu instid0(VALU_DEP_4) | instskip(NEXT) | instid1(VALU_DEP_4)
	v_fma_f64 v[179:180], v[179:180], v[187:188], -v[221:222]
	v_fma_f64 v[181:182], v[181:182], v[187:188], v[189:190]
	global_load_b128 v[187:190], v157, s[8:9] offset:8624
	v_fma_f64 v[191:192], v[191:192], v[195:196], -v[219:220]
	v_fma_f64 v[193:194], v[193:194], v[195:196], v[197:198]
	ds_load_b128 v[195:198], v157 offset:3920
	s_wait_loadcnt_dscnt 0x300
	v_mul_f64_e32 v[219:220], v[197:198], v[213:214]
	v_mul_f64_e32 v[213:214], v[195:196], v[213:214]
	s_delay_alu instid0(VALU_DEP_2) | instskip(NEXT) | instid1(VALU_DEP_2)
	v_fma_f64 v[195:196], v[195:196], v[211:212], -v[219:220]
	v_fma_f64 v[197:198], v[197:198], v[211:212], v[213:214]
	ds_load_b128 v[211:214], v157 offset:5488
	s_wait_loadcnt_dscnt 0x200
	v_mul_f64_e32 v[219:220], v[213:214], v[173:174]
	v_mul_f64_e32 v[173:174], v[211:212], v[173:174]
	s_delay_alu instid0(VALU_DEP_2) | instskip(NEXT) | instid1(VALU_DEP_2)
	;; [unrolled: 7-line block ×4, first 2 shown]
	v_fma_f64 v[215:216], v[215:216], v[187:188], -v[219:220]
	v_fma_f64 v[217:218], v[217:218], v[187:188], v[189:190]
	global_load_b128 v[187:190], v157, s[8:9] offset:10192
	ds_load_b128 v[219:222], v157 offset:10192
	s_wait_loadcnt_dscnt 0x0
	v_mul_f64_e32 v[223:224], v[221:222], v[189:190]
	v_mul_f64_e32 v[189:190], v[219:220], v[189:190]
	s_delay_alu instid0(VALU_DEP_2) | instskip(NEXT) | instid1(VALU_DEP_2)
	v_fma_f64 v[219:220], v[219:220], v[187:188], -v[223:224]
	v_fma_f64 v[221:222], v[221:222], v[187:188], v[189:190]
	ds_store_b128 v157, v[199:202]
	ds_store_b128 v157, v[183:186] offset:784
	ds_store_b128 v157, v[203:206] offset:1568
	;; [unrolled: 1-line block ×13, first 2 shown]
	global_wb scope:SCOPE_SE
	s_wait_dscnt 0x0
	s_barrier_signal -1
	s_barrier_wait -1
	global_inv scope:SCOPE_SE
	ds_load_b128 v[163:166], v157 offset:9408
	ds_load_b128 v[167:170], v157 offset:1568
	;; [unrolled: 1-line block ×11, first 2 shown]
	s_wait_dscnt 0x9
	v_add_f64_e32 v[207:208], v[167:168], v[163:164]
	v_add_f64_e32 v[209:210], v[169:170], v[165:166]
	s_wait_dscnt 0x7
	v_add_f64_e32 v[211:212], v[171:172], v[175:176]
	v_add_f64_e32 v[213:214], v[173:174], v[177:178]
	;; [unrolled: 3-line block ×4, first 2 shown]
	v_add_f64_e64 v[223:224], v[167:168], -v[163:164]
	v_add_f64_e64 v[225:226], v[169:170], -v[165:166]
	ds_load_b128 v[163:166], v157 offset:7056
	v_add_f64_e64 v[171:172], v[171:172], -v[175:176]
	v_add_f64_e64 v[173:174], v[173:174], -v[177:178]
	s_wait_dscnt 0x2
	v_add_f64_e32 v[175:176], v[199:200], v[195:196]
	v_add_f64_e32 v[177:178], v[201:202], v[197:198]
	v_add_f64_e64 v[195:196], v[195:196], -v[199:200]
	v_add_f64_e64 v[179:180], v[179:180], -v[183:184]
	;; [unrolled: 1-line block ×6, first 2 shown]
	s_wait_dscnt 0x0
	v_add_f64_e32 v[199:200], v[203:204], v[163:164]
	v_add_f64_e32 v[183:184], v[205:206], v[165:166]
	v_add_f64_e64 v[203:204], v[163:164], -v[203:204]
	v_add_f64_e64 v[205:206], v[165:166], -v[205:206]
	ds_load_b128 v[163:166], v157
	v_add_f64_e32 v[167:168], v[211:212], v[207:208]
	v_add_f64_e32 v[169:170], v[213:214], v[209:210]
	v_add_f64_e64 v[227:228], v[211:212], -v[207:208]
	v_add_f64_e32 v[189:190], v[219:220], v[215:216]
	v_add_f64_e32 v[191:192], v[221:222], v[217:218]
	v_add_f64_e64 v[207:208], v[207:208], -v[175:176]
	v_add_f64_e64 v[229:230], v[195:196], -v[171:172]
	v_add_f64_e64 v[231:232], v[197:198], -v[173:174]
	v_add_f64_e64 v[233:234], v[203:204], -v[185:186]
	v_add_f64_e64 v[235:236], v[205:206], -v[187:188]
	v_add_f64_e32 v[193:194], v[175:176], v[167:168]
	v_add_f64_e32 v[201:202], v[177:178], v[169:170]
	ds_load_b128 v[167:170], v157 offset:784
	v_add_f64_e64 v[175:176], v[175:176], -v[211:212]
	v_add_f64_e32 v[189:190], v[199:200], v[189:190]
	v_add_f64_e32 v[191:192], v[183:184], v[191:192]
	v_add_f64_e64 v[211:212], v[213:214], -v[209:210]
	v_add_f64_e64 v[209:210], v[209:210], -v[177:178]
	;; [unrolled: 1-line block ×9, first 2 shown]
	v_add_f64_e32 v[221:222], v[195:196], v[171:172]
	v_add_f64_e64 v[195:196], v[223:224], -v[195:196]
	v_add_f64_e64 v[171:172], v[171:172], -v[223:224]
	v_mul_f64_e32 v[207:208], s[22:23], v[207:208]
	global_wb scope:SCOPE_SE
	s_wait_dscnt 0x0
	s_barrier_signal -1
	s_barrier_wait -1
	global_inv scope:SCOPE_SE
	v_add_f64_e32 v[163:164], v[163:164], v[193:194]
	v_add_f64_e32 v[165:166], v[165:166], v[201:202]
	v_add_f64_e32 v[167:168], v[167:168], v[189:190]
	v_add_f64_e32 v[169:170], v[169:170], v[191:192]
	v_mul_f64_e32 v[209:210], s[22:23], v[209:210]
	v_mul_f64_e32 v[215:216], s[22:23], v[215:216]
	v_add_f64_e32 v[221:222], v[221:222], v[223:224]
	v_add_f64_e32 v[223:224], v[197:198], v[173:174]
	v_add_f64_e64 v[197:198], v[225:226], -v[197:198]
	v_add_f64_e64 v[173:174], v[173:174], -v[225:226]
	s_delay_alu instid0(VALU_DEP_3) | instskip(SKIP_3) | instid1(VALU_DEP_3)
	v_add_f64_e32 v[223:224], v[223:224], v[225:226]
	v_add_f64_e32 v[225:226], v[203:204], v[185:186]
	v_add_f64_e64 v[203:204], v[179:180], -v[203:204]
	v_add_f64_e64 v[185:186], v[185:186], -v[179:180]
	v_add_f64_e32 v[179:180], v[225:226], v[179:180]
	v_add_f64_e32 v[225:226], v[205:206], v[187:188]
	v_add_f64_e64 v[205:206], v[181:182], -v[205:206]
	v_add_f64_e64 v[187:188], v[187:188], -v[181:182]
	s_delay_alu instid0(VALU_DEP_3) | instskip(SKIP_3) | instid1(VALU_DEP_3)
	v_add_f64_e32 v[181:182], v[225:226], v[181:182]
	v_mul_f64_e32 v[225:226], s[2:3], v[175:176]
	v_fma_f64 v[175:176], v[175:176], s[2:3], v[207:208]
	v_fma_f64 v[207:208], v[227:228], s[18:19], -v[207:208]
	v_fma_f64 v[225:226], v[227:228], s[16:17], -v[225:226]
	v_mul_f64_e32 v[227:228], s[2:3], v[177:178]
	v_fma_f64 v[177:178], v[177:178], s[2:3], v[209:210]
	v_fma_f64 v[209:210], v[211:212], s[18:19], -v[209:210]
	s_delay_alu instid0(VALU_DEP_3) | instskip(SKIP_3) | instid1(VALU_DEP_2)
	v_fma_f64 v[227:228], v[211:212], s[16:17], -v[227:228]
	s_wait_alu 0xfffe
	v_mul_f64_e32 v[211:212], s[20:21], v[229:230]
	v_mul_f64_e32 v[229:230], s[28:29], v[171:172]
	v_fma_f64 v[171:172], v[171:172], s[12:13], -v[211:212]
	v_fma_f64 v[211:212], v[195:196], s[26:27], v[211:212]
	s_delay_alu instid0(VALU_DEP_3) | instskip(SKIP_2) | instid1(VALU_DEP_4)
	v_fma_f64 v[195:196], v[195:196], s[24:25], v[229:230]
	v_mul_f64_e32 v[229:230], s[20:21], v[231:232]
	v_mul_f64_e32 v[231:232], s[28:29], v[173:174]
	v_fma_f64 v[211:212], v[221:222], s[30:31], v[211:212]
	s_delay_alu instid0(VALU_DEP_4) | instskip(NEXT) | instid1(VALU_DEP_4)
	v_fma_f64 v[195:196], v[221:222], s[30:31], v[195:196]
	v_fma_f64 v[173:174], v[173:174], s[12:13], -v[229:230]
	v_fma_f64 v[229:230], v[197:198], s[26:27], v[229:230]
	v_fma_f64 v[197:198], v[197:198], s[24:25], v[231:232]
	v_mul_f64_e32 v[231:232], s[2:3], v[199:200]
	v_fma_f64 v[199:200], v[199:200], s[2:3], v[215:216]
	s_delay_alu instid0(VALU_DEP_3) | instskip(NEXT) | instid1(VALU_DEP_3)
	v_fma_f64 v[197:198], v[223:224], s[30:31], v[197:198]
	v_fma_f64 v[231:232], v[213:214], s[16:17], -v[231:232]
	v_fma_f64 v[213:214], v[213:214], s[18:19], -v[215:216]
	v_mul_f64_e32 v[215:216], s[22:23], v[217:218]
	v_mul_f64_e32 v[217:218], s[2:3], v[183:184]
	s_delay_alu instid0(VALU_DEP_2) | instskip(NEXT) | instid1(VALU_DEP_2)
	v_fma_f64 v[183:184], v[183:184], s[2:3], v[215:216]
	v_fma_f64 v[217:218], v[219:220], s[16:17], -v[217:218]
	v_fma_f64 v[215:216], v[219:220], s[18:19], -v[215:216]
	v_mul_f64_e32 v[219:220], s[20:21], v[233:234]
	v_mul_f64_e32 v[233:234], s[28:29], v[185:186]
	s_delay_alu instid0(VALU_DEP_2) | instskip(SKIP_1) | instid1(VALU_DEP_3)
	v_fma_f64 v[185:186], v[185:186], s[12:13], -v[219:220]
	v_fma_f64 v[219:220], v[203:204], s[26:27], v[219:220]
	v_fma_f64 v[203:204], v[203:204], s[24:25], v[233:234]
	v_mul_f64_e32 v[233:234], s[20:21], v[235:236]
	v_mul_f64_e32 v[235:236], s[28:29], v[187:188]
	s_delay_alu instid0(VALU_DEP_4) | instskip(NEXT) | instid1(VALU_DEP_4)
	v_fma_f64 v[219:220], v[179:180], s[30:31], v[219:220]
	v_fma_f64 v[243:244], v[179:180], s[30:31], v[203:204]
	s_delay_alu instid0(VALU_DEP_4)
	v_fma_f64 v[187:188], v[187:188], s[12:13], -v[233:234]
	v_fma_f64 v[233:234], v[205:206], s[26:27], v[233:234]
	v_fma_f64 v[205:206], v[205:206], s[24:25], v[235:236]
	v_fma_f64 v[235:236], v[221:222], s[30:31], v[171:172]
	v_fma_f64 v[171:172], v[193:194], s[14:15], v[163:164]
	v_fma_f64 v[221:222], v[223:224], s[30:31], v[229:230]
	v_fma_f64 v[229:230], v[223:224], s[30:31], v[173:174]
	v_fma_f64 v[173:174], v[191:192], s[14:15], v[169:170]
	v_fma_f64 v[237:238], v[181:182], s[30:31], v[187:188]
	v_fma_f64 v[245:246], v[181:182], s[30:31], v[205:206]
	v_add_f64_e32 v[193:194], v[175:176], v[171:172]
	v_add_f64_e32 v[207:208], v[207:208], v[171:172]
	;; [unrolled: 1-line block ×3, first 2 shown]
	v_fma_f64 v[171:172], v[201:202], s[14:15], v[165:166]
	v_add_f64_e32 v[241:242], v[183:184], v[173:174]
	v_add_f64_e32 v[215:216], v[215:216], v[173:174]
	;; [unrolled: 1-line block ×3, first 2 shown]
	v_add_f64_e64 v[191:192], v[193:194], -v[221:222]
	v_add_f64_e32 v[183:184], v[207:208], v[197:198]
	v_add_f64_e64 v[175:176], v[223:224], -v[229:230]
	v_add_f64_e32 v[201:202], v[177:178], v[171:172]
	v_add_f64_e32 v[209:210], v[209:210], v[171:172]
	;; [unrolled: 1-line block ×3, first 2 shown]
	v_fma_f64 v[171:172], v[189:190], s[14:15], v[167:168]
	v_fma_f64 v[227:228], v[181:182], s[30:31], v[233:234]
	;; [unrolled: 1-line block ×3, first 2 shown]
	v_add_f64_e32 v[179:180], v[223:224], v[229:230]
	v_add_f64_e64 v[187:188], v[207:208], -v[197:198]
	v_add_f64_e64 v[197:198], v[241:242], -v[219:220]
	;; [unrolled: 1-line block ×4, first 2 shown]
	v_add_f64_e32 v[177:178], v[235:236], v[225:226]
	v_add_f64_e32 v[239:240], v[199:200], v[171:172]
	;; [unrolled: 1-line block ×5, first 2 shown]
	v_add_f64_e64 v[181:182], v[225:226], -v[235:236]
	v_add_f64_e32 v[189:190], v[195:196], v[209:210]
	v_add_f64_e32 v[193:194], v[211:212], v[201:202]
	v_add_f64_e64 v[209:210], v[215:216], -v[243:244]
	v_add_f64_e32 v[201:202], v[233:234], v[217:218]
	v_add_f64_e64 v[205:206], v[217:218], -v[233:234]
	v_add_f64_e32 v[217:218], v[219:220], v[241:242]
	v_add_f64_e32 v[195:196], v[239:240], v[227:228]
	;; [unrolled: 1-line block ×3, first 2 shown]
	v_add_f64_e64 v[199:200], v[231:232], -v[237:238]
	v_add_f64_e32 v[203:204], v[231:232], v[237:238]
	v_add_f64_e64 v[211:212], v[213:214], -v[245:246]
	v_add_f64_e32 v[213:214], v[243:244], v[215:216]
	v_add_f64_e64 v[215:216], v[239:240], -v[227:228]
	ds_store_b128 v160, v[163:166]
	ds_store_b128 v160, v[171:174] offset:16
	ds_store_b128 v160, v[183:186] offset:32
	;; [unrolled: 1-line block ×6, first 2 shown]
	ds_store_b128 v159, v[167:170]
	ds_store_b128 v159, v[195:198] offset:16
	ds_store_b128 v159, v[207:210] offset:32
	;; [unrolled: 1-line block ×6, first 2 shown]
	global_wb scope:SCOPE_SE
	s_wait_dscnt 0x0
	s_barrier_signal -1
	s_barrier_wait -1
	global_inv scope:SCOPE_SE
	ds_load_b128 v[163:166], v157 offset:1568
	ds_load_b128 v[167:170], v157 offset:3136
	;; [unrolled: 1-line block ×10, first 2 shown]
	s_wait_dscnt 0x9
	v_mul_f64_e32 v[159:160], v[78:79], v[165:166]
	v_mul_f64_e32 v[78:79], v[78:79], v[163:164]
	s_wait_dscnt 0x8
	v_mul_f64_e32 v[203:204], v[66:67], v[169:170]
	v_mul_f64_e32 v[66:67], v[66:67], v[167:168]
	;; [unrolled: 3-line block ×7, first 2 shown]
	v_fma_f64 v[159:160], v[76:77], v[163:164], v[159:160]
	s_wait_dscnt 0x2
	v_mul_f64_e32 v[163:164], v[102:103], v[193:194]
	v_mul_f64_e32 v[102:103], v[102:103], v[191:192]
	v_fma_f64 v[78:79], v[76:77], v[165:166], -v[78:79]
	v_fma_f64 v[165:166], v[64:65], v[167:168], v[203:204]
	v_fma_f64 v[66:67], v[64:65], v[169:170], -v[66:67]
	ds_load_b128 v[62:65], v157 offset:5488
	ds_load_b128 v[74:77], v157 offset:7056
	s_wait_dscnt 0x3
	v_mul_f64_e32 v[167:168], v[98:99], v[197:198]
	v_fma_f64 v[169:170], v[60:61], v[171:172], v[205:206]
	v_fma_f64 v[60:61], v[60:61], v[173:174], -v[207:208]
	v_mul_f64_e32 v[98:99], v[98:99], v[195:196]
	s_wait_dscnt 0x2
	v_mul_f64_e32 v[171:172], v[94:95], v[201:202]
	v_mul_f64_e32 v[94:95], v[94:95], v[199:200]
	v_fma_f64 v[173:174], v[56:57], v[175:176], v[209:210]
	v_fma_f64 v[56:57], v[56:57], v[177:178], -v[58:59]
	v_fma_f64 v[177:178], v[72:73], v[179:180], v[211:212]
	v_fma_f64 v[72:73], v[72:73], v[181:182], -v[213:214]
	;; [unrolled: 2-line block ×4, first 2 shown]
	s_wait_dscnt 0x1
	v_mul_f64_e32 v[58:59], v[86:87], v[64:65]
	v_mul_f64_e32 v[86:87], v[86:87], v[62:63]
	s_wait_dscnt 0x0
	v_mul_f64_e32 v[175:176], v[82:83], v[76:77]
	v_mul_f64_e32 v[82:83], v[82:83], v[74:75]
	v_fma_f64 v[90:91], v[100:101], v[191:192], v[163:164]
	v_fma_f64 v[100:101], v[100:101], v[193:194], -v[102:103]
	v_fma_f64 v[102:103], v[96:97], v[195:196], v[167:168]
	v_add_f64_e32 v[163:164], v[78:79], v[60:61]
	v_fma_f64 v[96:97], v[96:97], v[197:198], -v[98:99]
	v_fma_f64 v[98:99], v[92:93], v[199:200], v[171:172]
	v_fma_f64 v[92:93], v[92:93], v[201:202], -v[94:95]
	v_add_f64_e32 v[94:95], v[159:160], v[169:170]
	v_add_f64_e32 v[167:168], v[165:166], v[173:174]
	;; [unrolled: 1-line block ×3, first 2 shown]
	v_add_f64_e64 v[165:166], v[165:166], -v[173:174]
	v_add_f64_e64 v[66:67], v[66:67], -v[56:57]
	;; [unrolled: 1-line block ×3, first 2 shown]
	v_fma_f64 v[58:59], v[84:85], v[62:63], v[58:59]
	v_fma_f64 v[62:63], v[84:85], v[64:65], -v[86:87]
	v_fma_f64 v[64:65], v[80:81], v[74:75], v[175:176]
	v_fma_f64 v[74:75], v[80:81], v[76:77], -v[82:83]
	v_add_f64_e32 v[76:77], v[177:178], v[70:71]
	v_add_f64_e32 v[80:81], v[72:73], v[88:89]
	v_add_f64_e64 v[70:71], v[177:178], -v[70:71]
	v_add_f64_e64 v[72:73], v[72:73], -v[88:89]
	v_add_f64_e32 v[82:83], v[179:180], v[90:91]
	v_add_f64_e32 v[84:85], v[68:69], v[100:101]
	v_add_f64_e64 v[90:91], v[179:180], -v[90:91]
	v_add_f64_e64 v[68:69], v[68:69], -v[100:101]
	;; [unrolled: 4-line block ×3, first 2 shown]
	v_add_f64_e64 v[96:97], v[159:160], -v[169:170]
	v_add_f64_e32 v[56:57], v[167:168], v[94:95]
	v_add_f64_e32 v[60:61], v[171:172], v[163:164]
	v_add_f64_e64 v[183:184], v[66:67], -v[78:79]
	v_add_f64_e32 v[100:101], v[58:59], v[64:65]
	v_add_f64_e32 v[102:103], v[62:63], v[74:75]
	v_add_f64_e64 v[64:65], v[64:65], -v[58:59]
	v_add_f64_e64 v[74:75], v[74:75], -v[62:63]
	v_add_f64_e32 v[58:59], v[82:83], v[76:77]
	v_add_f64_e32 v[62:63], v[84:85], v[80:81]
	v_add_f64_e64 v[193:194], v[90:91], -v[70:71]
	v_add_f64_e64 v[195:196], v[68:69], -v[72:73]
	v_add_f64_e64 v[88:89], v[94:95], -v[86:87]
	v_add_f64_e64 v[159:160], v[163:164], -v[175:176]
	v_add_f64_e64 v[169:170], v[86:87], -v[167:168]
	v_add_f64_e64 v[173:174], v[175:176], -v[171:172]
	v_add_f64_e64 v[177:178], v[98:99], -v[165:166]
	v_add_f64_e64 v[179:180], v[92:93], -v[66:67]
	v_add_f64_e64 v[181:182], v[165:166], -v[96:97]
	v_add_f64_e32 v[86:87], v[86:87], v[56:57]
	v_add_f64_e32 v[175:176], v[175:176], v[60:61]
	v_add_f64_e64 v[94:95], v[167:168], -v[94:95]
	v_add_f64_e64 v[163:164], v[171:172], -v[163:164]
	v_add_f64_e32 v[165:166], v[98:99], v[165:166]
	v_add_f64_e32 v[66:67], v[92:93], v[66:67]
	v_add_f64_e64 v[98:99], v[96:97], -v[98:99]
	v_add_f64_e64 v[92:93], v[78:79], -v[92:93]
	v_mul_f64_e32 v[203:204], s[28:29], v[183:184]
	v_add_f64_e64 v[185:186], v[76:77], -v[100:101]
	v_add_f64_e64 v[187:188], v[80:81], -v[102:103]
	;; [unrolled: 1-line block ×4, first 2 shown]
	v_add_f64_e32 v[90:91], v[64:65], v[90:91]
	v_add_f64_e32 v[68:69], v[74:75], v[68:69]
	v_add_f64_e64 v[64:65], v[70:71], -v[64:65]
	v_add_f64_e64 v[74:75], v[72:73], -v[74:75]
	;; [unrolled: 1-line block ×4, first 2 shown]
	v_add_f64_e32 v[197:198], v[100:101], v[58:59]
	v_add_f64_e32 v[199:200], v[102:103], v[62:63]
	v_add_f64_e64 v[100:101], v[100:101], -v[82:83]
	v_add_f64_e64 v[102:103], v[102:103], -v[84:85]
	ds_load_b128 v[56:59], v157
	ds_load_b128 v[60:63], v157 offset:784
	v_mul_f64_e32 v[205:206], s[28:29], v[193:194]
	v_mul_f64_e32 v[207:208], s[28:29], v[195:196]
	global_wb scope:SCOPE_SE
	s_wait_dscnt 0x0
	s_barrier_signal -1
	s_barrier_wait -1
	v_mul_f64_e32 v[88:89], s[22:23], v[88:89]
	v_mul_f64_e32 v[159:160], s[22:23], v[159:160]
	;; [unrolled: 1-line block ×7, first 2 shown]
	global_inv scope:SCOPE_SE
	v_add_f64_e32 v[96:97], v[165:166], v[96:97]
	v_add_f64_e32 v[66:67], v[66:67], v[78:79]
	;; [unrolled: 1-line block ×4, first 2 shown]
	v_mul_f64_e32 v[185:186], s[22:23], v[185:186]
	v_mul_f64_e32 v[187:188], s[22:23], v[187:188]
	;; [unrolled: 1-line block ×4, first 2 shown]
	v_add_f64_e32 v[70:71], v[90:91], v[70:71]
	v_add_f64_e32 v[68:69], v[68:69], v[72:73]
	;; [unrolled: 1-line block ×4, first 2 shown]
	v_mul_f64_e32 v[82:83], s[2:3], v[100:101]
	v_mul_f64_e32 v[84:85], s[2:3], v[102:103]
	v_fma_f64 v[72:73], v[169:170], s[2:3], v[88:89]
	v_fma_f64 v[78:79], v[173:174], s[2:3], v[159:160]
	v_fma_f64 v[90:91], v[94:95], s[16:17], -v[167:168]
	v_fma_f64 v[165:166], v[163:164], s[16:17], -v[171:172]
	v_fma_f64 v[167:168], v[98:99], s[26:27], v[177:178]
	v_fma_f64 v[169:170], v[92:93], s[26:27], v[179:180]
	v_fma_f64 v[171:172], v[181:182], s[12:13], -v[177:178]
	v_fma_f64 v[98:99], v[98:99], s[24:25], v[201:202]
	v_fma_f64 v[92:93], v[92:93], s[24:25], v[203:204]
	v_fma_f64 v[88:89], v[94:95], s[18:19], -v[88:89]
	v_fma_f64 v[94:95], v[163:164], s[18:19], -v[159:160]
	v_fma_f64 v[173:174], v[183:184], s[12:13], -v[179:180]
	v_fma_f64 v[86:87], v[86:87], s[14:15], v[56:57]
	v_fma_f64 v[175:176], v[175:176], s[14:15], v[58:59]
	;; [unrolled: 1-line block ×6, first 2 shown]
	v_fma_f64 v[179:180], v[195:196], s[12:13], -v[191:192]
	v_fma_f64 v[177:178], v[193:194], s[12:13], -v[189:190]
	v_fma_f64 v[64:65], v[64:65], s[24:25], v[205:206]
	v_fma_f64 v[74:75], v[74:75], s[24:25], v[207:208]
	v_fma_f64 v[185:186], v[76:77], s[18:19], -v[185:186]
	v_fma_f64 v[187:188], v[80:81], s[18:19], -v[187:188]
	v_fma_f64 v[181:182], v[197:198], s[14:15], v[60:61]
	v_fma_f64 v[183:184], v[199:200], s[14:15], v[62:63]
	;; [unrolled: 4-line block ×3, first 2 shown]
	v_fma_f64 v[82:83], v[96:97], s[30:31], v[171:172]
	v_fma_f64 v[96:97], v[96:97], s[30:31], v[98:99]
	;; [unrolled: 1-line block ×4, first 2 shown]
	v_add_f64_e32 v[98:99], v[72:73], v[86:87]
	v_add_f64_e32 v[171:172], v[78:79], v[175:176]
	;; [unrolled: 1-line block ×6, first 2 shown]
	v_fma_f64 v[159:160], v[70:71], s[30:31], v[159:160]
	v_fma_f64 v[173:174], v[68:69], s[30:31], v[163:164]
	;; [unrolled: 1-line block ×6, first 2 shown]
	v_add_f64_e32 v[179:180], v[100:101], v[181:182]
	v_add_f64_e32 v[189:190], v[102:103], v[183:184]
	;; [unrolled: 1-line block ×7, first 2 shown]
	v_add_f64_e64 v[66:67], v[171:172], -v[167:168]
	v_add_f64_e32 v[68:69], v[92:93], v[88:89]
	v_add_f64_e64 v[70:71], v[94:95], -v[96:97]
	v_add_f64_e64 v[72:73], v[78:79], -v[169:170]
	v_add_f64_e32 v[74:75], v[82:83], v[86:87]
	v_add_f64_e32 v[76:77], v[169:170], v[78:79]
	v_add_f64_e64 v[78:79], v[86:87], -v[82:83]
	v_add_f64_e64 v[80:81], v[88:89], -v[92:93]
	v_add_f64_e32 v[82:83], v[96:97], v[94:95]
	v_add_f64_e64 v[84:85], v[98:99], -v[84:85]
	v_add_f64_e32 v[86:87], v[167:168], v[171:172]
	v_add_f64_e32 v[88:89], v[173:174], v[179:180]
	v_add_f64_e64 v[90:91], v[189:190], -v[159:160]
	v_add_f64_e32 v[92:93], v[177:178], v[185:186]
	v_add_f64_e64 v[94:95], v[187:188], -v[175:176]
	v_add_f64_e64 v[96:97], v[100:101], -v[165:166]
	v_add_f64_e32 v[98:99], v[163:164], v[102:103]
	v_add_f64_e32 v[100:101], v[165:166], v[100:101]
	v_add_f64_e64 v[102:103], v[102:103], -v[163:164]
	v_add_f64_e64 v[163:164], v[185:186], -v[177:178]
	v_add_f64_e32 v[165:166], v[175:176], v[187:188]
	v_add_f64_e64 v[167:168], v[179:180], -v[173:174]
	v_add_f64_e32 v[169:170], v[159:160], v[189:190]
	ds_store_b128 v162, v[56:59]
	ds_store_b128 v162, v[64:67] offset:112
	ds_store_b128 v162, v[68:71] offset:224
	;; [unrolled: 1-line block ×6, first 2 shown]
	ds_store_b128 v161, v[60:63]
	ds_store_b128 v161, v[88:91] offset:112
	ds_store_b128 v161, v[92:95] offset:224
	;; [unrolled: 1-line block ×6, first 2 shown]
	global_wb scope:SCOPE_SE
	s_wait_dscnt 0x0
	s_barrier_signal -1
	s_barrier_wait -1
	global_inv scope:SCOPE_SE
	ds_load_b128 v[56:59], v157 offset:1568
	ds_load_b128 v[60:63], v157 offset:3136
	;; [unrolled: 1-line block ×12, first 2 shown]
	s_wait_dscnt 0xb
	v_mul_f64_e32 v[159:160], v[110:111], v[58:59]
	v_mul_f64_e32 v[161:162], v[110:111], v[56:57]
	s_wait_dscnt 0xa
	v_mul_f64_e32 v[163:164], v[106:107], v[62:63]
	v_mul_f64_e32 v[165:166], v[106:107], v[60:61]
	;; [unrolled: 3-line block ×9, first 2 shown]
	v_mul_f64_e32 v[187:188], v[114:115], v[90:91]
	v_mul_f64_e32 v[189:190], v[114:115], v[88:89]
	v_fma_f64 v[56:57], v[108:109], v[56:57], v[159:160]
	v_fma_f64 v[58:59], v[108:109], v[58:59], -v[161:162]
	v_fma_f64 v[60:61], v[104:105], v[60:61], v[163:164]
	v_fma_f64 v[62:63], v[104:105], v[62:63], -v[165:166]
	;; [unrolled: 2-line block ×4, first 2 shown]
	s_wait_dscnt 0x1
	v_mul_f64_e32 v[159:160], v[118:119], v[98:99]
	v_mul_f64_e32 v[118:119], v[118:119], v[96:97]
	s_wait_dscnt 0x0
	v_mul_f64_e32 v[161:162], v[114:115], v[102:103]
	v_mul_f64_e32 v[114:115], v[114:115], v[100:101]
	v_fma_f64 v[72:73], v[108:109], v[72:73], v[175:176]
	v_fma_f64 v[74:75], v[108:109], v[74:75], -v[110:111]
	v_fma_f64 v[76:77], v[104:105], v[76:77], v[177:178]
	v_fma_f64 v[78:79], v[104:105], v[78:79], -v[106:107]
	;; [unrolled: 2-line block ×6, first 2 shown]
	v_add_f64_e32 v[104:105], v[56:57], v[64:65]
	v_add_f64_e32 v[106:107], v[58:59], v[66:67]
	v_add_f64_e32 v[108:109], v[60:61], v[68:69]
	v_add_f64_e32 v[110:111], v[62:63], v[70:71]
	v_fma_f64 v[96:97], v[116:117], v[96:97], v[159:160]
	v_fma_f64 v[98:99], v[116:117], v[98:99], -v[118:119]
	v_fma_f64 v[100:101], v[112:113], v[100:101], v[161:162]
	v_fma_f64 v[102:103], v[112:113], v[102:103], -v[114:115]
	v_add_f64_e64 v[68:69], v[60:61], -v[68:69]
	v_add_f64_e64 v[70:71], v[62:63], -v[70:71]
	;; [unrolled: 1-line block ×4, first 2 shown]
	v_add_f64_e32 v[112:113], v[72:73], v[80:81]
	v_add_f64_e32 v[114:115], v[74:75], v[82:83]
	;; [unrolled: 1-line block ×4, first 2 shown]
	v_add_f64_e64 v[76:77], v[76:77], -v[84:85]
	v_add_f64_e64 v[78:79], v[78:79], -v[86:87]
	v_add_f64_e32 v[120:121], v[92:93], v[88:89]
	v_add_f64_e32 v[122:123], v[94:95], v[90:91]
	v_add_f64_e64 v[88:89], v[88:89], -v[92:93]
	v_add_f64_e64 v[90:91], v[90:91], -v[94:95]
	;; [unrolled: 1-line block ×4, first 2 shown]
	v_add_f64_e32 v[56:57], v[108:109], v[104:105]
	v_add_f64_e32 v[58:59], v[110:111], v[106:107]
	v_add_f64_e32 v[60:61], v[96:97], v[100:101]
	v_add_f64_e32 v[62:63], v[98:99], v[102:103]
	v_add_f64_e64 v[84:85], v[100:101], -v[96:97]
	v_add_f64_e64 v[86:87], v[102:103], -v[98:99]
	;; [unrolled: 1-line block ×4, first 2 shown]
	v_add_f64_e32 v[80:81], v[116:117], v[112:113]
	v_add_f64_e32 v[82:83], v[118:119], v[114:115]
	v_add_f64_e64 v[92:93], v[104:105], -v[120:121]
	v_add_f64_e64 v[94:95], v[106:107], -v[122:123]
	;; [unrolled: 1-line block ×10, first 2 shown]
	v_add_f64_e32 v[68:69], v[88:89], v[68:69]
	v_add_f64_e32 v[70:71], v[90:91], v[70:71]
	v_add_f64_e64 v[88:89], v[64:65], -v[88:89]
	v_add_f64_e64 v[90:91], v[66:67], -v[90:91]
	v_add_f64_e32 v[120:121], v[120:121], v[56:57]
	v_add_f64_e32 v[122:123], v[122:123], v[58:59]
	v_add_f64_e64 v[159:160], v[112:113], -v[60:61]
	v_add_f64_e64 v[161:162], v[114:115], -v[62:63]
	v_add_f64_e64 v[163:164], v[84:85], -v[76:77]
	v_add_f64_e64 v[165:166], v[86:87], -v[78:79]
	v_add_f64_e64 v[171:172], v[60:61], -v[116:117]
	v_add_f64_e64 v[173:174], v[62:63], -v[118:119]
	v_add_f64_e32 v[76:77], v[84:85], v[76:77]
	v_add_f64_e32 v[78:79], v[86:87], v[78:79]
	;; [unrolled: 1-line block ×4, first 2 shown]
	ds_load_b128 v[56:59], v157
	ds_load_b128 v[60:63], v157 offset:784
	v_mul_f64_e32 v[175:176], s[28:29], v[124:125]
	v_mul_f64_e32 v[92:93], s[22:23], v[92:93]
	;; [unrolled: 1-line block ×8, first 2 shown]
	v_add_f64_e64 v[84:85], v[72:73], -v[84:85]
	v_add_f64_e64 v[86:87], v[74:75], -v[86:87]
	v_mul_f64_e32 v[179:180], s[28:29], v[167:168]
	v_mul_f64_e32 v[181:182], s[28:29], v[169:170]
	v_add_f64_e64 v[112:113], v[116:117], -v[112:113]
	v_add_f64_e64 v[114:115], v[118:119], -v[114:115]
	v_add_f64_e32 v[64:65], v[68:69], v[64:65]
	v_add_f64_e32 v[66:67], v[70:71], v[66:67]
	global_wb scope:SCOPE_SE
	s_wait_dscnt 0x0
	s_barrier_signal -1
	s_barrier_wait -1
	global_inv scope:SCOPE_SE
	v_add_f64_e32 v[56:57], v[56:57], v[120:121]
	v_add_f64_e32 v[58:59], v[58:59], v[122:123]
	v_mul_f64_e32 v[159:160], s[22:23], v[159:160]
	v_mul_f64_e32 v[161:162], s[22:23], v[161:162]
	;; [unrolled: 1-line block ×6, first 2 shown]
	v_add_f64_e32 v[68:69], v[76:77], v[72:73]
	v_add_f64_e32 v[70:71], v[78:79], v[74:75]
	v_add_f64_e32 v[60:61], v[60:61], v[80:81]
	v_add_f64_e32 v[62:63], v[62:63], v[82:83]
	v_fma_f64 v[72:73], v[96:97], s[2:3], v[92:93]
	v_fma_f64 v[74:75], v[98:99], s[2:3], v[94:95]
	v_fma_f64 v[76:77], v[104:105], s[16:17], -v[108:109]
	v_fma_f64 v[78:79], v[106:107], s[16:17], -v[110:111]
	v_fma_f64 v[96:97], v[88:89], s[26:27], v[100:101]
	v_fma_f64 v[98:99], v[90:91], s[26:27], v[102:103]
	;; [unrolled: 1-line block ×4, first 2 shown]
	v_fma_f64 v[92:93], v[104:105], s[18:19], -v[92:93]
	v_fma_f64 v[94:95], v[106:107], s[18:19], -v[94:95]
	;; [unrolled: 1-line block ×4, first 2 shown]
	v_fma_f64 v[108:109], v[120:121], s[14:15], v[56:57]
	v_fma_f64 v[110:111], v[122:123], s[14:15], v[58:59]
	;; [unrolled: 1-line block ×6, first 2 shown]
	v_fma_f64 v[124:125], v[167:168], s[12:13], -v[163:164]
	v_fma_f64 v[126:127], v[169:170], s[12:13], -v[165:166]
	v_fma_f64 v[84:85], v[84:85], s[24:25], v[179:180]
	v_fma_f64 v[86:87], v[86:87], s[24:25], v[181:182]
	;; [unrolled: 1-line block ×4, first 2 shown]
	v_fma_f64 v[159:160], v[112:113], s[18:19], -v[159:160]
	v_fma_f64 v[161:162], v[114:115], s[18:19], -v[161:162]
	;; [unrolled: 1-line block ×4, first 2 shown]
	s_mul_i32 s2, s5, 0xffffde50
	v_fma_f64 v[96:97], v[64:65], s[30:31], v[96:97]
	v_fma_f64 v[98:99], v[66:67], s[30:31], v[98:99]
	;; [unrolled: 1-line block ×4, first 2 shown]
	s_wait_alu 0xfffe
	s_sub_co_i32 s2, s2, s4
	v_fma_f64 v[100:101], v[64:65], s[30:31], v[100:101]
	v_fma_f64 v[102:103], v[66:67], s[30:31], v[102:103]
	v_add_f64_e32 v[116:117], v[72:73], v[108:109]
	v_add_f64_e32 v[118:119], v[74:75], v[110:111]
	;; [unrolled: 1-line block ×6, first 2 shown]
	v_fma_f64 v[110:111], v[68:69], s[30:31], v[120:121]
	v_fma_f64 v[108:109], v[70:71], s[30:31], v[122:123]
	;; [unrolled: 1-line block ×6, first 2 shown]
	v_add_f64_e32 v[163:164], v[104:105], v[80:81]
	v_add_f64_e32 v[165:166], v[106:107], v[82:83]
	;; [unrolled: 1-line block ×7, first 2 shown]
	v_add_f64_e64 v[66:67], v[118:119], -v[96:97]
	v_add_f64_e32 v[68:69], v[90:91], v[92:93]
	v_add_f64_e64 v[70:71], v[94:95], -v[88:89]
	v_add_f64_e64 v[72:73], v[76:77], -v[102:103]
	v_add_f64_e32 v[74:75], v[100:101], v[78:79]
	v_add_f64_e32 v[76:77], v[102:103], v[76:77]
	v_add_f64_e64 v[78:79], v[78:79], -v[100:101]
	v_add_f64_e64 v[80:81], v[92:93], -v[90:91]
	v_add_f64_e32 v[82:83], v[88:89], v[94:95]
	v_add_f64_e64 v[84:85], v[116:117], -v[98:99]
	v_add_f64_e32 v[86:87], v[96:97], v[118:119]
	v_add_f64_e32 v[88:89], v[108:109], v[163:164]
	v_add_f64_e64 v[90:91], v[165:166], -v[110:111]
	v_add_f64_e32 v[92:93], v[126:127], v[104:105]
	v_add_f64_e64 v[94:95], v[106:107], -v[124:125]
	v_add_f64_e64 v[96:97], v[112:113], -v[122:123]
	v_add_f64_e32 v[98:99], v[120:121], v[114:115]
	v_add_f64_e32 v[100:101], v[122:123], v[112:113]
	v_add_f64_e64 v[102:103], v[114:115], -v[120:121]
	v_add_f64_e64 v[104:105], v[104:105], -v[126:127]
	v_add_f64_e32 v[106:107], v[124:125], v[106:107]
	v_add_f64_e64 v[108:109], v[163:164], -v[108:109]
	v_add_f64_e32 v[110:111], v[110:111], v[165:166]
	ds_store_b128 v157, v[56:59]
	ds_store_b128 v157, v[60:63] offset:5488
	ds_store_b128 v157, v[64:67] offset:784
	;; [unrolled: 1-line block ×13, first 2 shown]
	global_wb scope:SCOPE_SE
	s_wait_dscnt 0x0
	s_barrier_signal -1
	s_barrier_wait -1
	global_inv scope:SCOPE_SE
	ds_load_b128 v[56:59], v157 offset:5488
	ds_load_b128 v[60:63], v157 offset:6272
	;; [unrolled: 1-line block ×7, first 2 shown]
	v_mad_co_u64_u32 v[112:113], null, s6, v156, 0
	v_mad_co_u64_u32 v[114:115], null, s4, v158, 0
	s_delay_alu instid0(VALU_DEP_1)
	v_mad_co_u64_u32 v[116:117], null, s7, v156, v[113:114]
	s_wait_dscnt 0x6
	v_mul_f64_e32 v[84:85], v[130:131], v[58:59]
	v_mul_f64_e32 v[86:87], v[130:131], v[56:57]
	s_wait_dscnt 0x5
	v_mul_f64_e32 v[88:89], v[134:135], v[62:63]
	v_mul_f64_e32 v[90:91], v[134:135], v[60:61]
	;; [unrolled: 3-line block ×7, first 2 shown]
	v_mad_co_u64_u32 v[117:118], null, s5, v158, v[115:116]
	v_mov_b32_e32 v113, v116
	s_delay_alu instid0(VALU_DEP_1) | instskip(NEXT) | instid1(VALU_DEP_3)
	v_lshlrev_b64_e32 v[112:113], 4, v[112:113]
	v_mov_b32_e32 v115, v117
	s_delay_alu instid0(VALU_DEP_1) | instskip(NEXT) | instid1(VALU_DEP_3)
	v_lshlrev_b64_e32 v[114:115], 4, v[114:115]
	v_add_co_u32 v112, vcc_lo, s0, v112
	s_wait_alu 0xfffd
	s_delay_alu instid0(VALU_DEP_4) | instskip(SKIP_1) | instid1(VALU_DEP_2)
	v_add_co_ci_u32_e32 v113, vcc_lo, s1, v113, vcc_lo
	s_mul_u64 s[0:1], s[4:5], 0x620
	v_add_co_u32 v112, vcc_lo, v112, v114
	s_wait_alu 0xfffd
	s_delay_alu instid0(VALU_DEP_2)
	v_add_co_ci_u32_e32 v113, vcc_lo, v113, v115, vcc_lo
	v_fma_f64 v[84:85], v[128:129], v[56:57], v[84:85]
	v_fma_f64 v[86:87], v[128:129], v[58:59], -v[86:87]
	v_fma_f64 v[88:89], v[132:133], v[60:61], v[88:89]
	v_fma_f64 v[90:91], v[132:133], v[62:63], -v[90:91]
	;; [unrolled: 2-line block ×7, first 2 shown]
	ds_load_b128 v[56:59], v157
	ds_load_b128 v[60:63], v157 offset:784
	ds_load_b128 v[64:67], v157 offset:1568
	;; [unrolled: 1-line block ×6, first 2 shown]
	s_wait_alu 0xfffe
	v_add_co_u32 v114, vcc_lo, v112, s0
	s_wait_alu 0xfffd
	v_add_co_ci_u32_e32 v115, vcc_lo, s1, v113, vcc_lo
	s_delay_alu instid0(VALU_DEP_2) | instskip(SKIP_1) | instid1(VALU_DEP_2)
	v_add_co_u32 v116, vcc_lo, v114, s0
	s_wait_alu 0xfffd
	v_add_co_ci_u32_e32 v117, vcc_lo, s1, v115, vcc_lo
	s_delay_alu instid0(VALU_DEP_2) | instskip(SKIP_1) | instid1(VALU_DEP_2)
	;; [unrolled: 4-line block ×3, first 2 shown]
	v_add_co_u32 v120, vcc_lo, v118, s0
	s_wait_alu 0xfffd
	v_add_co_ci_u32_e32 v121, vcc_lo, s1, v119, vcc_lo
	s_delay_alu instid0(VALU_DEP_2)
	v_add_co_u32 v122, vcc_lo, v120, s0
	s_wait_dscnt 0x6
	v_add_f64_e64 v[84:85], v[56:57], -v[84:85]
	v_add_f64_e64 v[86:87], v[58:59], -v[86:87]
	s_wait_dscnt 0x5
	v_add_f64_e64 v[88:89], v[60:61], -v[88:89]
	v_add_f64_e64 v[90:91], v[62:63], -v[90:91]
	s_wait_dscnt 0x4
	v_add_f64_e64 v[92:93], v[64:65], -v[92:93]
	v_add_f64_e64 v[94:95], v[66:67], -v[94:95]
	s_wait_dscnt 0x3
	v_add_f64_e64 v[96:97], v[68:69], -v[96:97]
	v_add_f64_e64 v[98:99], v[70:71], -v[98:99]
	s_wait_dscnt 0x2
	v_add_f64_e64 v[100:101], v[72:73], -v[100:101]
	v_add_f64_e64 v[102:103], v[74:75], -v[102:103]
	s_wait_dscnt 0x1
	v_add_f64_e64 v[104:105], v[76:77], -v[104:105]
	v_add_f64_e64 v[106:107], v[78:79], -v[106:107]
	s_wait_dscnt 0x0
	v_add_f64_e64 v[108:109], v[80:81], -v[108:109]
	v_add_f64_e64 v[110:111], v[82:83], -v[110:111]
	s_wait_alu 0xfffd
	v_add_co_ci_u32_e32 v123, vcc_lo, s1, v121, vcc_lo
	v_add_co_u32 v152, vcc_lo, v122, s0
	s_wait_alu 0xfffd
	s_delay_alu instid0(VALU_DEP_2) | instskip(NEXT) | instid1(VALU_DEP_1)
	v_add_co_ci_u32_e32 v153, vcc_lo, s1, v123, vcc_lo
	v_mad_co_u64_u32 v[154:155], null, 0xffffde50, s4, v[152:153]
	s_delay_alu instid0(VALU_DEP_1)
	v_add_nc_u32_e32 v155, s2, v155
	s_mov_b32 s2, 0x515a4f1d
	s_mov_b32 s3, 0x3f57e225
	v_fma_f64 v[56:57], v[56:57], 2.0, -v[84:85]
	v_fma_f64 v[58:59], v[58:59], 2.0, -v[86:87]
	;; [unrolled: 1-line block ×14, first 2 shown]
	ds_store_b128 v157, v[88:91] offset:6272
	ds_store_b128 v157, v[92:95] offset:7056
	;; [unrolled: 1-line block ×7, first 2 shown]
	ds_store_b128 v157, v[56:59]
	ds_store_b128 v157, v[60:63] offset:784
	ds_store_b128 v157, v[64:67] offset:1568
	;; [unrolled: 1-line block ×6, first 2 shown]
	global_wb scope:SCOPE_SE
	s_wait_dscnt 0x0
	s_barrier_signal -1
	s_barrier_wait -1
	global_inv scope:SCOPE_SE
	ds_load_b128 v[56:59], v157
	ds_load_b128 v[60:63], v157 offset:1568
	ds_load_b128 v[64:67], v157 offset:3136
	ds_load_b128 v[68:71], v157 offset:4704
	ds_load_b128 v[72:75], v157 offset:6272
	ds_load_b128 v[76:79], v157 offset:7840
	ds_load_b128 v[80:83], v157 offset:9408
	ds_load_b128 v[84:87], v157 offset:784
	ds_load_b128 v[88:91], v157 offset:2352
	ds_load_b128 v[92:95], v157 offset:3920
	ds_load_b128 v[96:99], v157 offset:5488
	ds_load_b128 v[100:103], v157 offset:7056
	ds_load_b128 v[104:107], v157 offset:8624
	ds_load_b128 v[108:111], v157 offset:10192
	s_wait_dscnt 0x7
	v_mul_f64_e32 v[136:137], v[6:7], v[82:83]
	v_mul_f64_e32 v[6:7], v[6:7], v[80:81]
	s_wait_dscnt 0x6
	v_mul_f64_e32 v[138:139], v[14:15], v[86:87]
	v_mul_f64_e32 v[124:125], v[10:11], v[58:59]
	;; [unrolled: 1-line block ×14, first 2 shown]
	s_wait_dscnt 0x5
	v_mul_f64_e32 v[140:141], v[22:23], v[90:91]
	v_mul_f64_e32 v[22:23], v[22:23], v[88:89]
	s_wait_dscnt 0x4
	v_mul_f64_e32 v[142:143], v[30:31], v[94:95]
	v_mul_f64_e32 v[30:31], v[30:31], v[92:93]
	;; [unrolled: 3-line block ×6, first 2 shown]
	v_fma_f64 v[56:57], v[8:9], v[56:57], v[124:125]
	v_fma_f64 v[8:9], v[8:9], v[58:59], -v[10:11]
	v_fma_f64 v[10:11], v[16:17], v[60:61], v[126:127]
	v_fma_f64 v[16:17], v[16:17], v[62:63], -v[18:19]
	;; [unrolled: 2-line block ×14, first 2 shown]
	v_add_co_u32 v86, vcc_lo, v154, s0
	s_wait_alu 0xfffd
	v_add_co_ci_u32_e32 v87, vcc_lo, s1, v155, vcc_lo
	s_wait_alu 0xfffe
	v_mul_f64_e32 v[0:1], s[2:3], v[56:57]
	v_mul_f64_e32 v[2:3], s[2:3], v[8:9]
	;; [unrolled: 1-line block ×28, first 2 shown]
	v_add_co_u32 v56, vcc_lo, v86, s0
	s_wait_alu 0xfffd
	v_add_co_ci_u32_e32 v57, vcc_lo, s1, v87, vcc_lo
	s_delay_alu instid0(VALU_DEP_2) | instskip(SKIP_1) | instid1(VALU_DEP_2)
	v_add_co_u32 v58, vcc_lo, v56, s0
	s_wait_alu 0xfffd
	v_add_co_ci_u32_e32 v59, vcc_lo, s1, v57, vcc_lo
	s_delay_alu instid0(VALU_DEP_2) | instskip(SKIP_1) | instid1(VALU_DEP_2)
	;; [unrolled: 4-line block ×4, first 2 shown]
	v_add_co_u32 v64, vcc_lo, v62, s0
	s_wait_alu 0xfffd
	v_add_co_ci_u32_e32 v65, vcc_lo, s1, v63, vcc_lo
	s_clause 0x4
	global_store_b128 v[112:113], v[0:3], off
	global_store_b128 v[114:115], v[4:7], off
	;; [unrolled: 1-line block ×14, first 2 shown]
.LBB0_2:
	s_nop 0
	s_sendmsg sendmsg(MSG_DEALLOC_VGPRS)
	s_endpgm
	.section	.rodata,"a",@progbits
	.p2align	6, 0x0
	.amdhsa_kernel bluestein_single_fwd_len686_dim1_dp_op_CI_CI
		.amdhsa_group_segment_fixed_size 10976
		.amdhsa_private_segment_fixed_size 0
		.amdhsa_kernarg_size 104
		.amdhsa_user_sgpr_count 2
		.amdhsa_user_sgpr_dispatch_ptr 0
		.amdhsa_user_sgpr_queue_ptr 0
		.amdhsa_user_sgpr_kernarg_segment_ptr 1
		.amdhsa_user_sgpr_dispatch_id 0
		.amdhsa_user_sgpr_private_segment_size 0
		.amdhsa_wavefront_size32 1
		.amdhsa_uses_dynamic_stack 0
		.amdhsa_enable_private_segment 0
		.amdhsa_system_sgpr_workgroup_id_x 1
		.amdhsa_system_sgpr_workgroup_id_y 0
		.amdhsa_system_sgpr_workgroup_id_z 0
		.amdhsa_system_sgpr_workgroup_info 0
		.amdhsa_system_vgpr_workitem_id 0
		.amdhsa_next_free_vgpr 247
		.amdhsa_next_free_sgpr 32
		.amdhsa_reserve_vcc 1
		.amdhsa_float_round_mode_32 0
		.amdhsa_float_round_mode_16_64 0
		.amdhsa_float_denorm_mode_32 3
		.amdhsa_float_denorm_mode_16_64 3
		.amdhsa_fp16_overflow 0
		.amdhsa_workgroup_processor_mode 1
		.amdhsa_memory_ordered 1
		.amdhsa_forward_progress 0
		.amdhsa_round_robin_scheduling 0
		.amdhsa_exception_fp_ieee_invalid_op 0
		.amdhsa_exception_fp_denorm_src 0
		.amdhsa_exception_fp_ieee_div_zero 0
		.amdhsa_exception_fp_ieee_overflow 0
		.amdhsa_exception_fp_ieee_underflow 0
		.amdhsa_exception_fp_ieee_inexact 0
		.amdhsa_exception_int_div_zero 0
	.end_amdhsa_kernel
	.text
.Lfunc_end0:
	.size	bluestein_single_fwd_len686_dim1_dp_op_CI_CI, .Lfunc_end0-bluestein_single_fwd_len686_dim1_dp_op_CI_CI
                                        ; -- End function
	.section	.AMDGPU.csdata,"",@progbits
; Kernel info:
; codeLenInByte = 14820
; NumSgprs: 34
; NumVgprs: 247
; ScratchSize: 0
; MemoryBound: 0
; FloatMode: 240
; IeeeMode: 1
; LDSByteSize: 10976 bytes/workgroup (compile time only)
; SGPRBlocks: 4
; VGPRBlocks: 30
; NumSGPRsForWavesPerEU: 34
; NumVGPRsForWavesPerEU: 247
; Occupancy: 5
; WaveLimiterHint : 1
; COMPUTE_PGM_RSRC2:SCRATCH_EN: 0
; COMPUTE_PGM_RSRC2:USER_SGPR: 2
; COMPUTE_PGM_RSRC2:TRAP_HANDLER: 0
; COMPUTE_PGM_RSRC2:TGID_X_EN: 1
; COMPUTE_PGM_RSRC2:TGID_Y_EN: 0
; COMPUTE_PGM_RSRC2:TGID_Z_EN: 0
; COMPUTE_PGM_RSRC2:TIDIG_COMP_CNT: 0
	.text
	.p2alignl 7, 3214868480
	.fill 96, 4, 3214868480
	.type	__hip_cuid_f40f7de133fbda7a,@object ; @__hip_cuid_f40f7de133fbda7a
	.section	.bss,"aw",@nobits
	.globl	__hip_cuid_f40f7de133fbda7a
__hip_cuid_f40f7de133fbda7a:
	.byte	0                               ; 0x0
	.size	__hip_cuid_f40f7de133fbda7a, 1

	.ident	"AMD clang version 19.0.0git (https://github.com/RadeonOpenCompute/llvm-project roc-6.4.0 25133 c7fe45cf4b819c5991fe208aaa96edf142730f1d)"
	.section	".note.GNU-stack","",@progbits
	.addrsig
	.addrsig_sym __hip_cuid_f40f7de133fbda7a
	.amdgpu_metadata
---
amdhsa.kernels:
  - .args:
      - .actual_access:  read_only
        .address_space:  global
        .offset:         0
        .size:           8
        .value_kind:     global_buffer
      - .actual_access:  read_only
        .address_space:  global
        .offset:         8
        .size:           8
        .value_kind:     global_buffer
      - .actual_access:  read_only
        .address_space:  global
        .offset:         16
        .size:           8
        .value_kind:     global_buffer
      - .actual_access:  read_only
        .address_space:  global
        .offset:         24
        .size:           8
        .value_kind:     global_buffer
      - .actual_access:  read_only
        .address_space:  global
        .offset:         32
        .size:           8
        .value_kind:     global_buffer
      - .offset:         40
        .size:           8
        .value_kind:     by_value
      - .address_space:  global
        .offset:         48
        .size:           8
        .value_kind:     global_buffer
      - .address_space:  global
        .offset:         56
        .size:           8
        .value_kind:     global_buffer
      - .address_space:  global
        .offset:         64
        .size:           8
        .value_kind:     global_buffer
      - .address_space:  global
        .offset:         72
        .size:           8
        .value_kind:     global_buffer
      - .offset:         80
        .size:           4
        .value_kind:     by_value
      - .address_space:  global
        .offset:         88
        .size:           8
        .value_kind:     global_buffer
      - .address_space:  global
        .offset:         96
        .size:           8
        .value_kind:     global_buffer
    .group_segment_fixed_size: 10976
    .kernarg_segment_align: 8
    .kernarg_segment_size: 104
    .language:       OpenCL C
    .language_version:
      - 2
      - 0
    .max_flat_workgroup_size: 49
    .name:           bluestein_single_fwd_len686_dim1_dp_op_CI_CI
    .private_segment_fixed_size: 0
    .sgpr_count:     34
    .sgpr_spill_count: 0
    .symbol:         bluestein_single_fwd_len686_dim1_dp_op_CI_CI.kd
    .uniform_work_group_size: 1
    .uses_dynamic_stack: false
    .vgpr_count:     247
    .vgpr_spill_count: 0
    .wavefront_size: 32
    .workgroup_processor_mode: 1
amdhsa.target:   amdgcn-amd-amdhsa--gfx1201
amdhsa.version:
  - 1
  - 2
...

	.end_amdgpu_metadata
